;; amdgpu-corpus repo=ROCm/rccl kind=compiled arch=gfx90a opt=O3
	.text
	.amdgcn_target "amdgcn-amd-amdhsa--gfx90a"
	.amdhsa_code_object_version 6
	.p2align	2                               ; -- Begin function _ZN12_GLOBAL__N_17runRingI12hip_bfloat168FuncProdIS1_E7ProtoLLLi0ELi1ELi0EEEviiP15ncclDevWorkColl
	.type	_ZN12_GLOBAL__N_17runRingI12hip_bfloat168FuncProdIS1_E7ProtoLLLi0ELi1ELi0EEEviiP15ncclDevWorkColl,@function
_ZN12_GLOBAL__N_17runRingI12hip_bfloat168FuncProdIS1_E7ProtoLLLi0ELi1ELi0EEEviiP15ncclDevWorkColl: ; @_ZN12_GLOBAL__N_17runRingI12hip_bfloat168FuncProdIS1_E7ProtoLLLi0ELi1ELi0EEEviiP15ncclDevWorkColl
; %bb.0:
	s_waitcnt vmcnt(0) expcnt(0) lgkmcnt(0)
	s_or_saveexec_b64 s[4:5], -1
	buffer_store_dword v63, off, s[0:3], s32 offset:104 ; 4-byte Folded Spill
	s_mov_b64 exec, s[4:5]
	buffer_store_dword v40, off, s[0:3], s32 offset:100 ; 4-byte Folded Spill
	buffer_store_dword v41, off, s[0:3], s32 offset:96 ; 4-byte Folded Spill
	;; [unrolled: 1-line block ×25, first 2 shown]
	buffer_store_dword a43, off, s[0:3], s32 ; 4-byte Folded Spill
	v_writelane_b32 v63, s34, 0
	v_writelane_b32 v63, s35, 1
	;; [unrolled: 1-line block ×29, first 2 shown]
	s_trap 2
	flat_load_dword v7, v[2:3]
	flat_load_dwordx4 v[12:15], v[2:3] offset:72
	flat_load_dwordx2 v[8:9], v[2:3] offset:88
	ds_read_b32 v5, v0
	ds_read_b64 v[22:23], v0
	v_mov_b32_e32 v24, v0
	v_mov_b32_e32 v20, v1
                                        ; implicit-def: $agpr4_agpr5
	s_waitcnt lgkmcnt(0)
	v_readfirstlane_b32 s22, v5
	s_waitcnt vmcnt(0)
	v_not_b32_sdwa v6, v7 dst_sel:DWORD dst_unused:UNUSED_PAD src0_sel:BYTE_0
	v_add_u32_sdwa v0, v7, v6 dst_sel:DWORD dst_unused:UNUSED_PAD src0_sel:BYTE_1 src1_sel:DWORD
	v_ashrrev_i32_e32 v1, 31, v0
	v_mul_lo_u32 v4, v15, v0
	v_mad_u64_u32 v[10:11], s[4:5], v14, v0, 0
	v_accvgpr_write_b32 a0, v12
	v_mul_lo_u32 v0, v14, v1
	v_accvgpr_write_b32 a1, v13
	v_accvgpr_write_b32 a2, v14
	;; [unrolled: 1-line block ×3, first 2 shown]
	v_add3_u32 v4, v11, v0, v4
	v_cmp_ne_u32_sdwa s[4:5], v7, v5 src0_sel:BYTE_0 src1_sel:DWORD
                                        ; implicit-def: $vgpr0_vgpr1
	s_and_saveexec_b64 s[6:7], s[4:5]
	s_xor_b64 s[4:5], exec, s[6:7]
	s_cbranch_execz .LBB0_6
; %bb.1:
	v_cmp_ne_u32_sdwa s[6:7], v7, v5 src0_sel:BYTE_1 src1_sel:DWORD
                                        ; implicit-def: $vgpr0_vgpr1
                                        ; implicit-def: $agpr4_agpr5
	s_and_saveexec_b64 s[10:11], s[6:7]
	s_xor_b64 s[6:7], exec, s[10:11]
	s_cbranch_execz .LBB0_3
; %bb.2:
	flat_load_dwordx2 v[0:1], v[2:3] offset:96
	v_add_u32_e32 v5, v5, v6
	v_accvgpr_read_b32 v15, a3
	v_ashrrev_i32_e32 v6, 31, v5
	v_accvgpr_read_b32 v14, a2
	v_accvgpr_read_b32 v13, a1
	;; [unrolled: 1-line block ×3, first 2 shown]
	v_mul_lo_u32 v6, v14, v6
	v_mul_lo_u32 v7, v15, v5
	v_mad_u64_u32 v[12:13], s[10:11], v14, v5, v[12:13]
	v_add3_u32 v13, v7, v13, v6
	v_accvgpr_write_b32 a4, v12
	v_accvgpr_write_b32 a5, v13
	s_waitcnt vmcnt(0) lgkmcnt(0)
	v_lshrrev_b64 v[0:1], 18, v[0:1]
.LBB0_3:
	s_andn2_saveexec_b64 s[6:7], s[6:7]
	s_cbranch_execz .LBB0_5
; %bb.4:
	flat_load_dword v0, v[2:3] offset:100
	v_accvgpr_read_b32 v13, a1
	v_accvgpr_read_b32 v12, a0
	v_add_co_u32_e32 v6, vcc, v10, v12
	v_addc_co_u32_e32 v7, vcc, v4, v13, vcc
	v_accvgpr_write_b32 a4, v6
	v_pk_mov_b32 v[14:15], v[8:9], v[8:9] op_sel:[0,1]
	v_accvgpr_write_b32 a0, v12
	v_accvgpr_write_b32 a5, v7
	;; [unrolled: 1-line block ×5, first 2 shown]
	s_waitcnt vmcnt(0) lgkmcnt(0)
	v_lshrrev_b32_e32 v0, 7, v0
.LBB0_5:
	s_or_b64 exec, exec, s[6:7]
.LBB0_6:
	s_andn2_saveexec_b64 s[4:5], s[4:5]
	s_cbranch_execz .LBB0_8
; %bb.7:
	flat_load_dwordx2 v[0:1], v[2:3] offset:96
	v_pk_mov_b32 v[6:7], 0, 0
	v_accvgpr_write_b32 a4, v6
	v_accvgpr_mov_b32 a3, a1
	v_accvgpr_write_b32 a5, v7
	v_accvgpr_mov_b32 a2, a0
	s_waitcnt vmcnt(0) lgkmcnt(0)
	v_lshlrev_b64 v[0:1], 3, v[0:1]
.LBB0_8:
	s_or_b64 exec, exec, s[4:5]
	flat_load_ushort v7, v[2:3] offset:8
	flat_load_dword v6, v[2:3] offset:4
	s_load_dword s4, s[8:9], 0x0
	flat_load_dwordx4 a[6:9], v[2:3] offset:16
	v_mov_b32_e32 v3, 0
	v_ashrrev_i32_e32 v25, 31, v24
	v_lshrrev_b32_e32 v1, 26, v25
	s_waitcnt lgkmcnt(0)
	s_cmp_lt_u32 s12, s4
	s_cselect_b32 s4, 12, 18
	s_add_u32 s4, s8, s4
	s_addc_u32 s5, s9, 0
	global_load_ushort v11, v3, s[4:5]
	s_trap 2
	ds_read_b32 v2, v0
	v_add_u32_e32 v1, v24, v1
	v_and_b32_e32 v1, 0xffffffc0, v1
	v_sub_u32_e32 v1, v24, v1
	s_mov_b32 s6, 0
	s_waitcnt lgkmcnt(0)
	v_cmp_gt_i32_e32 vcc, 0, v2
	v_readfirstlane_b32 s8, v2
	s_and_b64 vcc, exec, vcc
	v_pk_mov_b32 v[18:19], 0, 0
	v_cmp_eq_u32_e64 s[4:5], 0, v1
	s_waitcnt vmcnt(0)
	v_lshrrev_b64 v[6:7], 31, v[6:7]
	v_and_b32_e32 v5, 3, v6
	s_cbranch_vccnz .LBB0_10
; %bb.9:
	s_trap 2
	ds_read_b64 v[6:7], v0
	v_lshlrev_b64 v[2:3], 3, v[2:3]
	s_movk_i32 s6, 0xa8
	s_waitcnt lgkmcnt(0)
	v_add_co_u32_e32 v2, vcc, v6, v2
	v_addc_co_u32_e32 v3, vcc, v7, v3, vcc
	flat_load_dwordx2 v[2:3], v[2:3]
	v_and_b32_e32 v6, 0xffff, v5
	s_waitcnt vmcnt(0) lgkmcnt(0)
	v_mad_u64_u32 v[2:3], s[6:7], v6, s6, v[2:3]
	flat_load_dwordx2 a[14:15], v[2:3] offset:504
	flat_load_dwordx2 v[34:35], v[2:3] offset:608
	v_add_co_u32_e32 v2, vcc, 0x1f8, v2
	v_addc_co_u32_e32 v3, vcc, 0, v3, vcc
	v_cndmask_b32_e64 v27, 0, v3, s[4:5]
	v_cndmask_b32_e64 v26, 0, v2, s[4:5]
	s_mov_b32 s6, 1
	s_branch .LBB0_11
.LBB0_10:
	v_pk_mov_b32 v[26:27], v[18:19], v[18:19] op_sel:[0,1]
                                        ; implicit-def: $vgpr34_vgpr35
                                        ; implicit-def: $agpr14_agpr15
.LBB0_11:
	s_trap 2
	ds_read_b32 v2, v0
	s_waitcnt lgkmcnt(0)
	v_cmp_gt_i32_e32 vcc, 0, v2
	s_cbranch_vccnz .LBB0_13
; %bb.12:
	s_trap 2
	ds_read_b64 v[6:7], v0
	v_mov_b32_e32 v3, 0
	v_lshlrev_b64 v[2:3], 3, v[2:3]
	v_and_b32_e32 v5, 0xffff, v5
	s_movk_i32 s4, 0xa8
	s_waitcnt lgkmcnt(0)
	v_add_co_u32_e32 v2, vcc, v6, v2
	v_addc_co_u32_e32 v3, vcc, v7, v3, vcc
	flat_load_dwordx2 v[2:3], v[2:3]
	v_cmp_eq_u32_e32 vcc, 0, v1
	s_waitcnt vmcnt(0) lgkmcnt(0)
	v_mad_u64_u32 v[2:3], s[4:5], v5, s4, v[2:3]
	flat_load_dwordx2 v[36:37], v[2:3]
	flat_load_dwordx2 v[16:17], v[2:3] offset:104
	v_cndmask_b32_e32 v19, 0, v3, vcc
	v_cndmask_b32_e32 v18, 0, v2, vcc
	s_branch .LBB0_14
.LBB0_13:
                                        ; implicit-def: $vgpr16_vgpr17
                                        ; implicit-def: $vgpr36_vgpr37
.LBB0_14:
	v_subrev_u32_e32 v2, 64, v20
	v_pk_mov_b32 v[12:13], 0, 0
	v_cmp_le_i32_e32 vcc, v2, v24
	v_cmp_gt_i32_e64 s[4:5], s6, v1
	v_accvgpr_write_b32 a17, v13
	s_and_b64 s[24:25], vcc, s[4:5]
	v_accvgpr_write_b32 a16, v12
                                        ; implicit-def: $vgpr38_vgpr39
	s_and_saveexec_b64 s[4:5], s[24:25]
	s_cbranch_execz .LBB0_16
; %bb.15:
	flat_load_dwordx2 a[16:17], v[26:27] offset:56
	flat_load_dwordx2 v[38:39], v[26:27] offset:104
.LBB0_16:
	s_or_b64 exec, exec, s[4:5]
	v_cmp_gt_i32_e64 s[4:5], s6, v24
	v_pk_mov_b32 v[50:51], v[12:13], v[12:13] op_sel:[0,1]
                                        ; implicit-def: $vgpr52_vgpr53
	s_and_saveexec_b64 s[6:7], s[4:5]
	s_cbranch_execz .LBB0_18
; %bb.17:
	flat_load_dwordx2 v[50:51], v[18:19] offset:56
	s_waitcnt vmcnt(0) lgkmcnt(0)
	flat_load_dwordx2 v[52:53], v[50:51] glc
	s_waitcnt vmcnt(0)
	flat_load_dwordx4 v[12:15], v[18:19] offset:96
.LBB0_18:
	s_or_b64 exec, exec, s[6:7]
	v_accvgpr_read_b32 v47, a3
	v_accvgpr_read_b32 v46, a2
	;; [unrolled: 1-line block ×4, first 2 shown]
	v_cmp_ne_u64_e32 vcc, 0, v[46:47]
	v_pk_mov_b32 v[42:43], 0, 0
	s_and_saveexec_b64 s[26:27], vcc
	s_cbranch_execz .LBB0_234
; %bb.19:
	v_add_co_u32_e32 v1, vcc, v8, v44
	s_ashr_i32 s6, s8, 31
	v_addc_co_u32_e32 v2, vcc, v9, v45, vcc
	s_lshr_b32 s6, s6, 29
	v_add_co_u32_e32 v44, vcc, v1, v10
	s_ashr_i32 s23, s22, 31
	s_add_i32 s8, s8, s6
	v_addc_co_u32_e32 v45, vcc, v2, v4, vcc
	s_lshl_b64 s[6:7], s[22:23], 2
	v_mov_b32_e32 v1, s7
	v_add_co_u32_e32 v2, vcc, s6, v22
	v_addc_co_u32_e32 v1, vcc, v23, v1, vcc
	v_add_co_u32_e32 v2, vcc, -4, v2
	v_addc_co_u32_e32 v3, vcc, -1, v1, vcc
	v_mov_b32_e32 v41, 0
	v_accvgpr_write_b32 a19, v3
	v_and_b32_e32 v6, 0xfffff8, v0
	v_mov_b32_e32 v7, v41
	v_accvgpr_write_b32 a18, v2
	v_and_b32_e32 v1, 63, v31
	v_ashrrev_i32_e32 v21, 31, v20
	v_lshlrev_b32_e32 v2, 2, v24
	v_accvgpr_write_b32 a10, v18
	v_pk_mov_b32 v[8:9], v[6:7], v[6:7] op_sel:[0,1]
	v_cmp_eq_u32_e64 s[12:13], 0, v1
	v_lshrrev_b32_e32 v1, 26, v21
	v_ashrrev_i32_e32 v3, 31, v2
	v_accvgpr_read_b32 v4, a6
	v_accvgpr_write_b32 a11, v19
	v_add_u32_e32 v1, v20, v1
	v_lshlrev_b64 v[18:19], 1, v[2:3]
	v_accvgpr_read_b32 v6, a8
	v_ashrrev_i32_e32 v10, 6, v1
	v_accvgpr_write_b32 a22, v2
	v_accvgpr_read_b32 v7, a9
	v_add_co_u32_e32 v1, vcc, v6, v18
	s_waitcnt vmcnt(0) lgkmcnt(0)
	v_accvgpr_read_b32 v2, a16
	v_addc_co_u32_e32 v7, vcc, v7, v19, vcc
	v_accvgpr_read_b32 v3, a17
	v_accvgpr_read_b32 v5, a7
	v_cmp_ne_u64_e64 s[14:15], 0, v[2:3]
	v_add_co_u32_e32 v2, vcc, v4, v18
	v_accvgpr_write_b32 a26, v2
	v_addc_co_u32_e32 v2, vcc, v5, v19, vcc
	v_and_b32_e32 v40, 1, v4
	v_accvgpr_read_b32 v4, a4
	v_accvgpr_read_b32 v5, a5
	v_accvgpr_write_b32 a27, v2
	v_lshlrev_b64 v[2:3], 1, v[4:5]
	v_add_co_u32_e32 v2, vcc, v1, v2
	v_addc_co_u32_e32 v3, vcc, v7, v3, vcc
	v_accvgpr_write_b32 a21, v1
	v_accvgpr_write_b32 a29, v3
	v_lshlrev_b32_e32 v1, 1, v0
	v_accvgpr_write_b32 a28, v2
	v_and_b32_e32 v2, 0x1fffff0, v1
	v_lshlrev_b32_e32 v1, 1, v4
	v_lshlrev_b32_e32 v0, 4, v0
	v_accvgpr_write_b32 a0, v31
	v_lshl_add_u32 v1, v24, 3, v1
	v_and_b32_e32 v31, 0xfffff80, v0
	v_lshlrev_b32_e32 v0, 4, v44
	v_accvgpr_write_b32 a30, v2
	v_add_lshl_u32 v2, v1, v6, 3
	v_accvgpr_write_b32 a33, v0
	v_lshlrev_b64 v[0:1], 4, v[24:25]
	v_add_co_u32_e32 v0, vcc, v36, v0
	s_ashr_i32 s10, s8, 3
	v_accvgpr_write_b32 a35, v0
	v_addc_co_u32_e32 v0, vcc, v37, v1, vcc
	v_ashrrev_i32_e32 v1, 31, v10
	s_ashr_i32 s54, s8, 7
	s_and_b32 s23, s10, -16
	v_lshlrev_b32_e32 v58, 2, v20
	v_accvgpr_write_b32 a36, v0
	v_accvgpr_write_b32 a37, v1
	v_lshlrev_b64 v[0:1], 1, v[44:45]
	v_accvgpr_write_b32 a12, v26
	v_ashrrev_i32_e32 v59, 31, v58
	s_cmp_gt_i32 s22, 2
	v_accvgpr_write_b32 a25, v19
	v_accvgpr_write_b32 a39, v1
	v_pk_mov_b32 v[28:29], 0, 0
	v_accvgpr_write_b32 a13, v27
	s_mov_b64 s[28:29], 0
	v_cmp_ne_u64_e64 s[6:7], 0, v[50:51]
	v_cmp_ne_u64_e64 s[8:9], 0, v[12:13]
	v_cmp_ne_u32_e64 s[10:11], 64, v20
	v_accvgpr_write_b32 a1, v11
	v_cmp_ne_u32_sdwa s[30:31], v11, v20 src0_sel:WORD_0 src1_sel:DWORD
	s_cselect_b64 s[34:35], -1, 0
	v_accvgpr_write_b32 a24, v18
	v_cmp_eq_u64_e64 s[16:17], 0, v[40:41]
	v_accvgpr_write_b32 a23, v7
	v_accvgpr_write_b32 a32, v2
	v_lshlrev_b32_e32 v32, 6, v20
	s_movk_i32 s55, 0x2710
	s_mov_b64 s[36:37], 0x7ffffff8
	s_mov_b32 s56, 0x7f800000
	s_movk_i32 s57, 0x7fff
	s_mov_b32 s58, 0xffff0000
	v_mov_b32_e32 v62, 0
	v_accvgpr_write_b32 a20, v10
	v_accvgpr_write_b32 a38, v0
	v_lshlrev_b64 v[56:57], 1, v[58:59]
	v_lshlrev_b64 v[60:61], 4, v[20:21]
	v_pk_mov_b32 v[42:43], v[28:29], v[28:29] op_sel:[0,1]
	v_pk_mov_b32 v[4:5], v[46:47], v[46:47] op_sel:[0,1]
	s_branch .LBB0_21
.LBB0_20:                               ;   in Loop: Header=BB0_21 Depth=1
	s_or_b64 exec, exec, s[18:19]
	v_add_co_u32_e32 v34, vcc, 1, v34
	v_addc_co_u32_e32 v35, vcc, 0, v35, vcc
	v_add_co_u32_e32 v28, vcc, v28, v8
	v_addc_co_u32_e32 v29, vcc, 0, v29, vcc
	v_accvgpr_read_b32 v0, a28
	s_waitcnt vmcnt(0) lgkmcnt(0)
	v_accvgpr_read_b32 v2, a30
	v_accvgpr_read_b32 v1, a29
	v_add_co_u32_e32 v0, vcc, v0, v2
	v_addc_co_u32_e32 v1, vcc, 0, v1, vcc
	v_accvgpr_write_b32 a29, v1
	v_accvgpr_write_b32 a28, v0
	v_accvgpr_read_b32 v0, a32
	v_cmp_ge_u64_e32 vcc, v[28:29], v[4:5]
	v_add_u32_e32 v0, v0, v31
	s_or_b64 s[28:29], vcc, s[28:29]
	v_accvgpr_write_b32 a32, v0
	s_andn2_b64 exec, exec, s[28:29]
	s_cbranch_execz .LBB0_233
.LBB0_21:                               ; =>This Loop Header: Depth=1
                                        ;     Child Loop BB0_28 Depth 2
                                        ;     Child Loop BB0_45 Depth 2
	;; [unrolled: 1-line block ×5, first 2 shown]
                                        ;       Child Loop BB0_85 Depth 3
                                        ;       Child Loop BB0_101 Depth 3
	;; [unrolled: 1-line block ×3, first 2 shown]
                                        ;         Child Loop BB0_122 Depth 4
                                        ;       Child Loop BB0_154 Depth 3
                                        ;       Child Loop BB0_78 Depth 3
                                        ;     Child Loop BB0_169 Depth 2
                                        ;       Child Loop BB0_177 Depth 3
                                        ;     Child Loop BB0_220 Depth 2
	v_accvgpr_read_b32 v0, a18
	v_accvgpr_read_b32 v1, a19
	flat_load_dword v2, v[0:1]
	v_sub_co_u32_e32 v0, vcc, v4, v28
	v_subb_co_u32_e32 v1, vcc, v5, v29, vcc
	v_cmp_lt_u64_e32 vcc, v[8:9], v[0:1]
	v_cndmask_b32_e32 v3, v0, v8, vcc
	v_lshl_add_u32 v0, v3, 2, 12
	v_and_b32_e32 v0, 0x7fffff0, v0
	v_accvgpr_write_b32 a40, v0
	s_and_saveexec_b64 s[18:19], s[6:7]
	s_cbranch_execz .LBB0_37
; %bb.22:                               ;   in Loop: Header=BB0_21 Depth=1
	v_add_co_u32_e32 v0, vcc, 1, v14
	v_addc_co_u32_e32 v1, vcc, 0, v15, vcc
	v_add_co_u32_e32 v4, vcc, 8, v52
	v_addc_co_u32_e32 v5, vcc, 0, v53, vcc
	v_cmp_lt_u64_e32 vcc, v[4:5], v[0:1]
	s_and_saveexec_b64 s[20:21], vcc
	s_cbranch_execz .LBB0_34
; %bb.23:                               ;   in Loop: Header=BB0_21 Depth=1
	s_sleep 1
	flat_load_dwordx2 v[52:53], v[50:51] glc
	v_cmp_eq_u32_e32 vcc, 0, v62
	s_and_saveexec_b64 s[38:39], vcc
	s_cbranch_execz .LBB0_33
; %bb.24:                               ;   in Loop: Header=BB0_21 Depth=1
	v_cndmask_b32_e64 v4, 0, 1, vcc
	s_mov_b64 s[40:41], 0
                                        ; implicit-def: $sgpr42_sgpr43
	s_branch .LBB0_28
.LBB0_25:                               ;   in Loop: Header=BB0_28 Depth=2
	s_or_b64 exec, exec, s[50:51]
	s_orn2_b64 s[48:49], s[48:49], exec
.LBB0_26:                               ;   in Loop: Header=BB0_28 Depth=2
	s_or_b64 exec, exec, s[46:47]
	s_xor_b64 vcc, s[48:49], -1
	s_andn2_b64 s[42:43], s[42:43], exec
	s_and_b64 vcc, vcc, exec
	s_or_b64 s[42:43], s[42:43], vcc
.LBB0_27:                               ;   in Loop: Header=BB0_28 Depth=2
	s_or_b64 exec, exec, s[44:45]
	s_and_b64 vcc, exec, s[42:43]
	s_or_b64 s[40:41], vcc, s[40:41]
	s_andn2_b64 exec, exec, s[40:41]
	s_cbranch_execz .LBB0_32
.LBB0_28:                               ;   Parent Loop BB0_21 Depth=1
                                        ; =>  This Inner Loop Header: Depth=2
	s_waitcnt vmcnt(0) lgkmcnt(0)
	v_add_co_u32_e32 v6, vcc, 8, v52
	v_addc_co_u32_e32 v7, vcc, 0, v53, vcc
	v_cmp_lt_u64_e32 vcc, v[6:7], v[0:1]
	v_mov_b32_e32 v62, 0
	s_or_b64 s[42:43], s[42:43], exec
	s_and_saveexec_b64 s[44:45], vcc
	s_cbranch_execz .LBB0_27
; %bb.29:                               ;   in Loop: Header=BB0_28 Depth=2
	s_sleep 1
	flat_load_dwordx2 v[52:53], v[50:51] glc
	v_add_u32_e32 v4, 1, v4
	v_cmp_eq_u32_e32 vcc, s55, v4
	s_mov_b64 s[48:49], -1
	v_mov_b32_e32 v62, 0
	s_and_saveexec_b64 s[46:47], vcc
	s_cbranch_execz .LBB0_26
; %bb.30:                               ;   in Loop: Header=BB0_28 Depth=2
	s_trap 2
	ds_read_b64 v[4:5], v0
	v_mov_b32_e32 v62, 0
	s_waitcnt vmcnt(0) lgkmcnt(0)
	flat_load_dword v5, v[4:5] glc
	s_waitcnt vmcnt(0) lgkmcnt(0)
	buffer_invl2
	buffer_wbinvl1_vol
	v_mov_b32_e32 v4, 0
	v_cmp_ne_u32_e32 vcc, 0, v5
	s_and_saveexec_b64 s[50:51], vcc
	s_cbranch_execz .LBB0_25
; %bb.31:                               ;   in Loop: Header=BB0_28 Depth=2
	v_mov_b32_e32 v62, 1
	s_xor_b64 s[48:49], exec, -1
	ds_write_b32 v0, v5
	s_trap 2
	s_branch .LBB0_25
.LBB0_32:                               ;   in Loop: Header=BB0_21 Depth=1
	s_or_b64 exec, exec, s[40:41]
.LBB0_33:                               ;   in Loop: Header=BB0_21 Depth=1
	s_or_b64 exec, exec, s[38:39]
.LBB0_34:                               ;   in Loop: Header=BB0_21 Depth=1
	s_or_b64 exec, exec, s[20:21]
	s_and_saveexec_b64 s[20:21], s[8:9]
	s_cbranch_execz .LBB0_36
; %bb.35:                               ;   in Loop: Header=BB0_21 Depth=1
	v_and_b32_e32 v40, 0x7ffffff8, v14
	v_mov_b32_e32 v4, s23
	v_cmp_eq_u64_e32 vcc, s[36:37], v[40:41]
	v_accvgpr_read_b32 v5, a40
	v_cndmask_b32_e32 v4, v5, v4, vcc
	v_and_b32_e32 v6, 7, v14
	v_ashrrev_i32_e32 v5, 31, v4
	v_mad_u64_u32 v[6:7], vcc, v6, 24, v[12:13]
	flat_store_dwordx2 v[6:7], v[4:5] offset:8
	s_waitcnt vmcnt(0)
.LBB0_36:                               ;   in Loop: Header=BB0_21 Depth=1
	s_or_b64 exec, exec, s[20:21]
	v_pk_mov_b32 v[14:15], v[0:1], v[0:1] op_sel:[0,1]
.LBB0_37:                               ;   in Loop: Header=BB0_21 Depth=1
	s_or_b64 exec, exec, s[18:19]
	s_and_saveexec_b64 s[18:19], s[10:11]
	s_cbranch_execz .LBB0_56
; %bb.38:                               ;   in Loop: Header=BB0_21 Depth=1
	s_and_saveexec_b64 s[20:21], s[30:31]
	s_xor_b64 s[20:21], exec, s[20:21]
	s_cbranch_execz .LBB0_53
; %bb.39:                               ;   in Loop: Header=BB0_21 Depth=1
	s_and_saveexec_b64 s[38:39], s[12:13]
	s_cbranch_execz .LBB0_52
; %bb.40:                               ;   in Loop: Header=BB0_21 Depth=1
	s_mov_b64 s[42:43], exec
	v_mbcnt_lo_u32_b32 v0, s42, 0
	v_mbcnt_hi_u32_b32 v0, s43, v0
	v_cmp_eq_u32_e32 vcc, 0, v0
	s_waitcnt vmcnt(0) lgkmcnt(0)
	buffer_wbinvl1_vol
	s_and_saveexec_b64 s[40:41], vcc
	s_cbranch_execz .LBB0_42
; %bb.41:                               ;   in Loop: Header=BB0_21 Depth=1
	s_bcnt1_i32_b64 vcc_lo, s[42:43]
	v_mov_b32_e32 v40, vcc_lo
	ds_add_u64 v0, v[40:41]
	s_trap 2
.LBB0_42:                               ;   in Loop: Header=BB0_21 Depth=1
	s_or_b64 exec, exec, s[40:41]
	s_trap 2
	ds_read_b64 v[0:1], v0
	v_accvgpr_read_b32 v4, a20
	v_add_co_u32_e32 v42, vcc, v42, v4
	v_accvgpr_read_b32 v5, a37
	v_addc_co_u32_e32 v43, vcc, v43, v5, vcc
	s_waitcnt lgkmcnt(0)
	v_cmp_lt_u64_e32 vcc, v[0:1], v[42:43]
	s_and_saveexec_b64 s[40:41], vcc
	s_cbranch_execz .LBB0_51
; %bb.43:                               ;   in Loop: Header=BB0_21 Depth=1
	s_mov_b32 s52, 0
	s_mov_b64 s[42:43], 0
                                        ; implicit-def: $sgpr44_sgpr45
                                        ; implicit-def: $sgpr46_sgpr47
	s_branch .LBB0_45
.LBB0_44:                               ;   in Loop: Header=BB0_45 Depth=2
	s_or_b64 exec, exec, s[50:51]
	s_and_b64 vcc, exec, vcc
	s_or_b64 s[42:43], vcc, s[42:43]
	s_andn2_b64 vcc, s[44:45], exec
	s_and_b64 s[44:45], s[46:47], exec
	s_or_b64 s[44:45], vcc, s[44:45]
	s_andn2_b64 exec, exec, s[42:43]
	s_cbranch_execz .LBB0_49
.LBB0_45:                               ;   Parent Loop BB0_21 Depth=1
                                        ; =>  This Inner Loop Header: Depth=2
	s_add_i32 s52, s52, 1
	s_cmpk_lg_i32 s52, 0x2710
	s_cselect_b64 s[48:49], -1, 0
	s_and_b64 vcc, exec, s[48:49]
                                        ; implicit-def: $sgpr50_sgpr51
	s_cbranch_vccnz .LBB0_47
; %bb.46:                               ;   in Loop: Header=BB0_45 Depth=2
	s_trap 2
	ds_read_b64 v[0:1], v0
	s_andn2_b64 s[48:49], s[48:49], exec
	s_mov_b32 s52, 0
	s_mov_b64 s[50:51], -1
	s_waitcnt lgkmcnt(0)
	flat_load_dword v0, v[0:1] glc
	s_waitcnt vmcnt(0) lgkmcnt(0)
	buffer_invl2
	buffer_wbinvl1_vol
	v_cmp_eq_u32_e32 vcc, 0, v0
	s_and_b64 vcc, vcc, exec
	s_or_b64 s[48:49], s[48:49], vcc
.LBB0_47:                               ;   in Loop: Header=BB0_45 Depth=2
	s_andn2_b64 s[46:47], s[46:47], exec
	s_and_b64 s[50:51], s[50:51], exec
	s_mov_b64 vcc, -1
	s_or_b64 s[46:47], s[46:47], s[50:51]
	s_and_saveexec_b64 s[50:51], s[48:49]
	s_cbranch_execz .LBB0_44
; %bb.48:                               ;   in Loop: Header=BB0_45 Depth=2
	s_sleep 1
	s_trap 2
	ds_read_b64 v[0:1], v0
	s_andn2_b64 s[46:47], s[46:47], exec
	s_waitcnt lgkmcnt(0)
	v_cmp_ge_u64_e32 vcc, v[0:1], v[42:43]
	s_orn2_b64 vcc, vcc, exec
	s_branch .LBB0_44
.LBB0_49:                               ;   in Loop: Header=BB0_21 Depth=1
	s_or_b64 exec, exec, s[42:43]
	s_and_saveexec_b64 vcc, s[44:45]
	s_xor_b64 vcc, exec, vcc
	s_cbranch_execz .LBB0_51
; %bb.50:                               ;   in Loop: Header=BB0_21 Depth=1
	v_mov_b32_e32 v0, 1
	ds_write_b32 v0, v0
	s_trap 2
.LBB0_51:                               ;   in Loop: Header=BB0_21 Depth=1
	s_or_b64 exec, exec, s[40:41]
	;;#ASMSTART
	s_wakeup
	;;#ASMEND
.LBB0_52:                               ;   in Loop: Header=BB0_21 Depth=1
	s_or_b64 exec, exec, s[38:39]
.LBB0_53:                               ;   in Loop: Header=BB0_21 Depth=1
	s_andn2_saveexec_b64 s[20:21], s[20:21]
	s_cbranch_execz .LBB0_55
; %bb.54:                               ;   in Loop: Header=BB0_21 Depth=1
	s_waitcnt vmcnt(0) lgkmcnt(0)
	buffer_wbinvl1_vol
	s_barrier
.LBB0_55:                               ;   in Loop: Header=BB0_21 Depth=1
	s_or_b64 exec, exec, s[20:21]
.LBB0_56:                               ;   in Loop: Header=BB0_21 Depth=1
	s_or_b64 exec, exec, s[18:19]
	v_accvgpr_read_b32 v0, a22
	v_accvgpr_write_b32 a6, v8
	v_sub_u32_e32 v48, v3, v0
	v_accvgpr_write_b32 a7, v9
	v_cmp_lt_i32_e64 s[18:19], 0, v48
	v_and_b32_e32 v1, 7, v16
	v_mov_b32_e32 v0, v24
	s_and_saveexec_b64 s[20:21], s[18:19]
	s_cbranch_execz .LBB0_64
; %bb.57:                               ;   in Loop: Header=BB0_21 Depth=1
	v_accvgpr_read_b32 v8, a28
	v_accvgpr_read_b32 v18, a38
	s_waitcnt vmcnt(0) lgkmcnt(0)
	v_ashrrev_i32_e32 v0, 31, v2
	v_mov_b32_e32 v3, v16
	v_add_co_u32_e64 v6, vcc, 0, 0
	v_accvgpr_read_b32 v9, a29
	v_accvgpr_read_b32 v19, a39
	v_mul_lo_u32 v4, v1, s54
	v_addc_co_u32_e32 v3, vcc, 1, v3, vcc
	v_mad_u64_u32 v[10:11], vcc, v18, v2, v[8:9]
	v_mul_lo_u32 v7, v19, v2
	v_mul_lo_u32 v0, v18, v0
	v_ashrrev_i32_e32 v5, 31, v4
	v_add3_u32 v11, v7, v11, v0
	v_accvgpr_read_b32 v0, a32
	v_accvgpr_read_b32 v7, a33
	v_mad_u64_u32 v[18:19], vcc, v7, v2, v[0:1]
	v_lshlrev_b64 v[4:5], 4, v[4:5]
	v_accvgpr_read_b32 v0, a35
	v_add_co_u32_e32 v54, vcc, v0, v4
	v_accvgpr_read_b32 v0, a36
	v_addc_co_u32_e32 v55, vcc, v0, v5, vcc
	s_mov_b64 s[38:39], 0
	v_mov_b32_e32 v7, v48
	v_mov_b32_e32 v0, v24
	s_branch .LBB0_59
.LBB0_58:                               ;   in Loop: Header=BB0_59 Depth=2
	s_or_b64 exec, exec, s[40:41]
	v_add_co_u32_e32 v10, vcc, v10, v56
	s_waitcnt vmcnt(0)
	v_alignbit_b32 v2, v9, v2, v18
	v_alignbit_b32 v4, v8, v9, v18
	v_sub_u32_e32 v7, v7, v58
	v_addc_co_u32_e32 v11, vcc, v11, v57, vcc
	v_or_b32_e32 v2, v6, v2
	v_or_b32_e32 v4, v6, v4
	v_mov_b32_e32 v5, v3
	v_cmp_gt_i32_e32 vcc, 1, v7
	global_store_dwordx4 v[54:55], v[2:5], off
	s_or_b64 s[38:39], vcc, s[38:39]
	v_add_co_u32_e32 v54, vcc, v54, v60
	v_add_u32_e32 v0, v0, v20
	v_add_u32_e32 v18, v18, v32
	v_addc_co_u32_e32 v55, vcc, v55, v61, vcc
	s_andn2_b64 exec, exec, s[38:39]
	s_cbranch_execz .LBB0_63
.LBB0_59:                               ;   Parent Loop BB0_21 Depth=1
                                        ; =>  This Inner Loop Header: Depth=2
	v_and_b32_e32 v4, -4, v10
	v_mov_b32_e32 v5, v11
	global_load_dword v2, v[4:5], off glc slc
	v_min_u32_e32 v9, 4, v7
	v_and_b32_e32 v19, 3, v10
	v_lshlrev_b32_e32 v9, 1, v9
	v_add_co_u32_e32 v46, vcc, v19, v9
	v_addc_co_u32_e64 v47, vcc, 0, 0, vcc
	v_mov_b32_e32 v8, 0
	v_cmp_lt_u64_e32 vcc, 4, v[46:47]
	v_mov_b32_e32 v9, 0
	s_and_saveexec_b64 s[40:41], vcc
	s_cbranch_execz .LBB0_61
; %bb.60:                               ;   in Loop: Header=BB0_59 Depth=2
	global_load_dword v9, v[4:5], off offset:4 glc slc
.LBB0_61:                               ;   in Loop: Header=BB0_59 Depth=2
	s_or_b64 exec, exec, s[40:41]
	v_cmp_lt_u64_e32 vcc, 8, v[46:47]
	s_and_saveexec_b64 s[40:41], vcc
	s_cbranch_execz .LBB0_58
; %bb.62:                               ;   in Loop: Header=BB0_59 Depth=2
	global_load_dword v8, v[4:5], off offset:8 glc slc
	s_branch .LBB0_58
.LBB0_63:                               ;   in Loop: Header=BB0_21 Depth=1
	s_or_b64 exec, exec, s[38:39]
.LBB0_64:                               ;   in Loop: Header=BB0_21 Depth=1
	s_or_b64 exec, exec, s[20:21]
	v_and_b32_e32 v40, 0x7ffffff8, v16
	v_cmp_eq_u64_e32 vcc, s[36:37], v[40:41]
	v_cmp_gt_i32_e64 s[20:21], s54, v0
	s_and_b64 s[20:21], vcc, s[20:21]
	s_and_saveexec_b64 s[38:39], s[20:21]
	s_cbranch_execz .LBB0_67
; %bb.65:                               ;   in Loop: Header=BB0_21 Depth=1
	v_mul_lo_u32 v4, v1, s54
	v_mov_b32_e32 v1, v16
	s_waitcnt vmcnt(0) lgkmcnt(0)
	v_add_co_u32_e64 v2, vcc, 0, 0
	v_ashrrev_i32_e32 v5, 31, v4
	v_addc_co_u32_e32 v3, vcc, 1, v1, vcc
	v_ashrrev_i32_e32 v1, 31, v0
	v_lshlrev_b64 v[6:7], 4, v[0:1]
	v_lshlrev_b64 v[4:5], 4, v[4:5]
	v_add_co_u32_e32 v1, vcc, v6, v4
	v_addc_co_u32_e32 v4, vcc, v7, v5, vcc
	v_add_co_u32_e32 v10, vcc, v36, v1
	v_addc_co_u32_e32 v11, vcc, v37, v4, vcc
	s_mov_b64 s[40:41], 0
.LBB0_66:                               ;   Parent Loop BB0_21 Depth=1
                                        ; =>  This Inner Loop Header: Depth=2
	v_mov_b32_e32 v4, v2
	v_mov_b32_e32 v5, v3
	v_add_u32_e32 v0, v0, v20
	global_store_dwordx4 v[10:11], v[2:5], off
	v_cmp_le_i32_e32 vcc, s54, v0
	v_add_co_u32_e64 v10, s[20:21], v10, v60
	s_or_b64 s[40:41], vcc, s[40:41]
	v_addc_co_u32_e64 v11, vcc, v11, v61, s[20:21]
	s_andn2_b64 exec, exec, s[40:41]
	s_cbranch_execnz .LBB0_66
.LBB0_67:                               ;   in Loop: Header=BB0_21 Depth=1
	s_or_b64 exec, exec, s[38:39]
	v_accvgpr_read_b32 v0, a4
	v_accvgpr_read_b32 v1, a5
	v_add_co_u32_e32 v0, vcc, v28, v0
	v_addc_co_u32_e32 v1, vcc, v29, v1, vcc
	v_add_co_u32_e32 v10, vcc, 1, v16
	v_addc_co_u32_e32 v11, vcc, 0, v17, vcc
	s_andn2_b64 vcc, exec, s[34:35]
	v_lshlrev_b64 v[6:7], 1, v[0:1]
	s_cbranch_vccnz .LBB0_165
; %bb.68:                               ;   in Loop: Header=BB0_21 Depth=1
	v_accvgpr_read_b32 v0, a21
	v_add_co_u32_e32 v30, vcc, v0, v6
	v_accvgpr_read_b32 v0, a23
	v_accvgpr_write_b32 a43, v7
	v_accvgpr_write_b32 a31, v31
	;; [unrolled: 1-line block ×3, first 2 shown]
	v_addc_co_u32_e32 v31, vcc, v0, v7, vcc
	v_add_u16_e32 v6, 1, v16
	s_mov_b32 s59, 2
	s_branch .LBB0_70
.LBB0_69:                               ;   in Loop: Header=BB0_70 Depth=2
	s_or_b64 exec, exec, s[38:39]
	v_add_co_u32_e32 v34, vcc, 1, v34
	v_addc_co_u32_e32 v35, vcc, 0, v35, vcc
	s_add_i32 s59, s59, 1
	v_add_co_u32_e32 v10, vcc, 1, v10
	v_addc_co_u32_e32 v11, vcc, 0, v11, vcc
	s_cmp_eq_u32 s59, s22
	v_add_u16_e32 v6, 1, v6
	s_cbranch_scc1 .LBB0_166
.LBB0_70:                               ;   Parent Loop BB0_21 Depth=1
                                        ; =>  This Loop Header: Depth=2
                                        ;       Child Loop BB0_85 Depth 3
                                        ;       Child Loop BB0_101 Depth 3
                                        ;       Child Loop BB0_114 Depth 3
                                        ;         Child Loop BB0_122 Depth 4
                                        ;       Child Loop BB0_154 Depth 3
                                        ;       Child Loop BB0_78 Depth 3
	s_sub_i32 s20, s22, s59
	s_ashr_i32 s21, s20, 31
	s_lshl_b64 s[20:21], s[20:21], 2
	v_mov_b32_e32 v1, s21
	v_add_co_u32_e32 v0, vcc, s20, v22
	v_addc_co_u32_e32 v1, vcc, v23, v1, vcc
	s_waitcnt vmcnt(0) lgkmcnt(0)
	flat_load_dword v2, v[0:1]
	s_and_saveexec_b64 s[20:21], s[6:7]
	s_cbranch_execnz .LBB0_79
; %bb.71:                               ;   in Loop: Header=BB0_70 Depth=2
	s_or_b64 exec, exec, s[20:21]
	s_and_saveexec_b64 s[20:21], s[10:11]
	s_cbranch_execnz .LBB0_94
.LBB0_72:                               ;   in Loop: Header=BB0_70 Depth=2
	s_or_b64 exec, exec, s[20:21]
	v_mov_b32_e32 v0, v24
	s_and_saveexec_b64 s[38:39], s[18:19]
	s_cbranch_execnz .LBB0_112
.LBB0_73:                               ;   in Loop: Header=BB0_70 Depth=2
	s_or_b64 exec, exec, s[38:39]
	s_and_saveexec_b64 s[20:21], s[10:11]
	s_cbranch_execnz .LBB0_147
.LBB0_74:                               ;   in Loop: Header=BB0_70 Depth=2
	s_or_b64 exec, exec, s[20:21]
	s_and_saveexec_b64 s[20:21], s[14:15]
	s_cbranch_execz .LBB0_76
.LBB0_75:                               ;   in Loop: Header=BB0_70 Depth=2
	v_add_co_u32_e32 v38, vcc, 1, v38
	s_waitcnt vmcnt(0) lgkmcnt(0)
	v_accvgpr_read_b32 v2, a16
	v_addc_co_u32_e32 v39, vcc, 0, v39, vcc
	v_accvgpr_read_b32 v3, a17
	flat_store_dwordx2 v[2:3], v[38:39]
.LBB0_76:                               ;   in Loop: Header=BB0_70 Depth=2
	s_or_b64 exec, exec, s[20:21]
	v_and_b32_e32 v40, 0x7ffffff8, v10
	v_cmp_eq_u64_e32 vcc, s[36:37], v[40:41]
	v_cmp_gt_i32_e64 s[20:21], s54, v0
	s_and_b64 s[20:21], vcc, s[20:21]
	s_and_saveexec_b64 s[38:39], s[20:21]
	s_cbranch_execz .LBB0_69
; %bb.77:                               ;   in Loop: Header=BB0_70 Depth=2
	v_and_b32_e32 v1, 7, v6
	s_waitcnt vmcnt(0) lgkmcnt(0)
	v_mul_lo_u32 v2, s54, v1
	v_ashrrev_i32_e32 v3, 31, v2
	v_lshlrev_b64 v[4:5], 4, v[2:3]
	v_mov_b32_e32 v1, v10
	v_add_co_u32_e64 v2, vcc, 0, 0
	v_addc_co_u32_e32 v3, vcc, 1, v1, vcc
	v_ashrrev_i32_e32 v1, 31, v0
	v_lshlrev_b64 v[8:9], 4, v[0:1]
	v_add_co_u32_e32 v1, vcc, v8, v4
	v_addc_co_u32_e32 v4, vcc, v9, v5, vcc
	v_add_co_u32_e32 v16, vcc, v36, v1
	v_addc_co_u32_e32 v17, vcc, v37, v4, vcc
	s_mov_b64 s[40:41], 0
.LBB0_78:                               ;   Parent Loop BB0_21 Depth=1
                                        ;     Parent Loop BB0_70 Depth=2
                                        ; =>    This Inner Loop Header: Depth=3
	v_mov_b32_e32 v4, v2
	v_mov_b32_e32 v5, v3
	v_add_u32_e32 v0, v0, v20
	global_store_dwordx4 v[16:17], v[2:5], off
	v_cmp_le_i32_e32 vcc, s54, v0
	v_add_co_u32_e64 v16, s[20:21], v16, v60
	s_or_b64 s[40:41], vcc, s[40:41]
	v_addc_co_u32_e64 v17, vcc, v17, v61, s[20:21]
	s_andn2_b64 exec, exec, s[40:41]
	s_cbranch_execnz .LBB0_78
	s_branch .LBB0_69
.LBB0_79:                               ;   in Loop: Header=BB0_70 Depth=2
	v_add_co_u32_e32 v0, vcc, 1, v14
	v_addc_co_u32_e32 v1, vcc, 0, v15, vcc
	v_add_co_u32_e32 v4, vcc, 8, v52
	v_addc_co_u32_e32 v5, vcc, 0, v53, vcc
	v_cmp_lt_u64_e32 vcc, v[4:5], v[0:1]
	s_and_saveexec_b64 s[38:39], vcc
	s_cbranch_execz .LBB0_91
; %bb.80:                               ;   in Loop: Header=BB0_70 Depth=2
	s_sleep 1
	flat_load_dwordx2 v[52:53], v[50:51] glc
	v_cmp_eq_u32_e32 vcc, 0, v62
	s_and_saveexec_b64 s[40:41], vcc
	s_cbranch_execz .LBB0_90
; %bb.81:                               ;   in Loop: Header=BB0_70 Depth=2
	v_cndmask_b32_e64 v3, 0, 1, vcc
	s_mov_b64 s[42:43], 0
                                        ; implicit-def: $sgpr44_sgpr45
	s_branch .LBB0_85
.LBB0_82:                               ;   in Loop: Header=BB0_85 Depth=3
	s_or_b64 exec, exec, s[52:53]
	s_orn2_b64 s[50:51], s[50:51], exec
.LBB0_83:                               ;   in Loop: Header=BB0_85 Depth=3
	s_or_b64 exec, exec, s[48:49]
	s_xor_b64 vcc, s[50:51], -1
	s_andn2_b64 s[44:45], s[44:45], exec
	s_and_b64 vcc, vcc, exec
	s_or_b64 s[44:45], s[44:45], vcc
.LBB0_84:                               ;   in Loop: Header=BB0_85 Depth=3
	s_or_b64 exec, exec, s[46:47]
	s_and_b64 vcc, exec, s[44:45]
	s_or_b64 s[42:43], vcc, s[42:43]
	s_andn2_b64 exec, exec, s[42:43]
	s_cbranch_execz .LBB0_89
.LBB0_85:                               ;   Parent Loop BB0_21 Depth=1
                                        ;     Parent Loop BB0_70 Depth=2
                                        ; =>    This Inner Loop Header: Depth=3
	s_waitcnt vmcnt(0) lgkmcnt(0)
	v_add_co_u32_e32 v4, vcc, 8, v52
	v_addc_co_u32_e32 v5, vcc, 0, v53, vcc
	v_cmp_lt_u64_e32 vcc, v[4:5], v[0:1]
	v_mov_b32_e32 v62, 0
	s_or_b64 s[44:45], s[44:45], exec
	s_and_saveexec_b64 s[46:47], vcc
	s_cbranch_execz .LBB0_84
; %bb.86:                               ;   in Loop: Header=BB0_85 Depth=3
	s_sleep 1
	flat_load_dwordx2 v[52:53], v[50:51] glc
	v_add_u32_e32 v3, 1, v3
	v_cmp_eq_u32_e32 vcc, s55, v3
	s_mov_b64 s[50:51], -1
	v_mov_b32_e32 v62, 0
	s_and_saveexec_b64 s[48:49], vcc
	s_cbranch_execz .LBB0_83
; %bb.87:                               ;   in Loop: Header=BB0_85 Depth=3
	s_trap 2
	ds_read_b64 v[4:5], v0
	v_mov_b32_e32 v3, 0
	v_mov_b32_e32 v62, 0
	s_waitcnt vmcnt(0) lgkmcnt(0)
	flat_load_dword v4, v[4:5] glc
	s_waitcnt vmcnt(0) lgkmcnt(0)
	buffer_invl2
	buffer_wbinvl1_vol
	v_cmp_ne_u32_e32 vcc, 0, v4
	s_and_saveexec_b64 s[52:53], vcc
	s_cbranch_execz .LBB0_82
; %bb.88:                               ;   in Loop: Header=BB0_85 Depth=3
	v_mov_b32_e32 v62, 1
	s_xor_b64 s[50:51], exec, -1
	ds_write_b32 v0, v4
	s_trap 2
	s_branch .LBB0_82
.LBB0_89:                               ;   in Loop: Header=BB0_70 Depth=2
	s_or_b64 exec, exec, s[42:43]
.LBB0_90:                               ;   in Loop: Header=BB0_70 Depth=2
	s_or_b64 exec, exec, s[40:41]
.LBB0_91:                               ;   in Loop: Header=BB0_70 Depth=2
	s_or_b64 exec, exec, s[38:39]
	s_and_saveexec_b64 s[38:39], s[8:9]
	s_cbranch_execz .LBB0_93
; %bb.92:                               ;   in Loop: Header=BB0_70 Depth=2
	v_and_b32_e32 v40, 0x7ffffff8, v14
	v_mov_b32_e32 v3, s23
	v_cmp_eq_u64_e32 vcc, s[36:37], v[40:41]
	v_accvgpr_read_b32 v4, a40
	v_cndmask_b32_e32 v4, v4, v3, vcc
	v_and_b32_e32 v3, 7, v14
	v_ashrrev_i32_e32 v5, 31, v4
	v_mad_u64_u32 v[8:9], vcc, v3, 24, v[12:13]
	flat_store_dwordx2 v[8:9], v[4:5] offset:8
	s_waitcnt vmcnt(0)
.LBB0_93:                               ;   in Loop: Header=BB0_70 Depth=2
	s_or_b64 exec, exec, s[38:39]
	v_pk_mov_b32 v[14:15], v[0:1], v[0:1] op_sel:[0,1]
	s_or_b64 exec, exec, s[20:21]
	s_and_saveexec_b64 s[20:21], s[10:11]
	s_cbranch_execz .LBB0_72
.LBB0_94:                               ;   in Loop: Header=BB0_70 Depth=2
	s_and_saveexec_b64 vcc, s[30:31]
	s_xor_b64 s[38:39], exec, vcc
	s_cbranch_execz .LBB0_109
; %bb.95:                               ;   in Loop: Header=BB0_70 Depth=2
	s_and_saveexec_b64 s[40:41], s[12:13]
	s_cbranch_execz .LBB0_108
; %bb.96:                               ;   in Loop: Header=BB0_70 Depth=2
	s_mov_b64 s[44:45], exec
	v_mbcnt_lo_u32_b32 v0, s44, 0
	v_mbcnt_hi_u32_b32 v0, s45, v0
	v_cmp_eq_u32_e32 vcc, 0, v0
	s_waitcnt vmcnt(0) lgkmcnt(0)
	buffer_wbinvl1_vol
	s_and_saveexec_b64 s[42:43], vcc
	s_cbranch_execz .LBB0_98
; %bb.97:                               ;   in Loop: Header=BB0_70 Depth=2
	s_bcnt1_i32_b64 vcc_lo, s[44:45]
	v_mov_b32_e32 v40, vcc_lo
	ds_add_u64 v0, v[40:41]
	s_trap 2
.LBB0_98:                               ;   in Loop: Header=BB0_70 Depth=2
	s_or_b64 exec, exec, s[42:43]
	s_trap 2
	ds_read_b64 v[0:1], v0
	v_accvgpr_read_b32 v4, a20
	v_add_co_u32_e32 v42, vcc, v42, v4
	v_accvgpr_read_b32 v3, a37
	v_addc_co_u32_e32 v43, vcc, v43, v3, vcc
	s_waitcnt lgkmcnt(0)
	v_cmp_lt_u64_e32 vcc, v[0:1], v[42:43]
	s_and_saveexec_b64 s[42:43], vcc
	s_cbranch_execz .LBB0_107
; %bb.99:                               ;   in Loop: Header=BB0_70 Depth=2
	s_mov_b32 s60, 0
	s_mov_b64 s[44:45], 0
                                        ; implicit-def: $sgpr46_sgpr47
                                        ; implicit-def: $sgpr48_sgpr49
	s_branch .LBB0_101
.LBB0_100:                              ;   in Loop: Header=BB0_101 Depth=3
	s_or_b64 exec, exec, s[52:53]
	s_and_b64 vcc, exec, vcc
	s_or_b64 s[44:45], vcc, s[44:45]
	s_andn2_b64 vcc, s[46:47], exec
	s_and_b64 s[46:47], s[48:49], exec
	s_or_b64 s[46:47], vcc, s[46:47]
	s_andn2_b64 exec, exec, s[44:45]
	s_cbranch_execz .LBB0_105
.LBB0_101:                              ;   Parent Loop BB0_21 Depth=1
                                        ;     Parent Loop BB0_70 Depth=2
                                        ; =>    This Inner Loop Header: Depth=3
	s_add_i32 s60, s60, 1
	s_cmpk_lg_i32 s60, 0x2710
	s_cselect_b64 s[50:51], -1, 0
	s_and_b64 vcc, exec, s[50:51]
                                        ; implicit-def: $sgpr52_sgpr53
	s_cbranch_vccnz .LBB0_103
; %bb.102:                              ;   in Loop: Header=BB0_101 Depth=3
	s_trap 2
	ds_read_b64 v[0:1], v0
	s_andn2_b64 s[50:51], s[50:51], exec
	s_mov_b32 s60, 0
	s_mov_b64 s[52:53], -1
	s_waitcnt lgkmcnt(0)
	flat_load_dword v0, v[0:1] glc
	s_waitcnt vmcnt(0) lgkmcnt(0)
	buffer_invl2
	buffer_wbinvl1_vol
	v_cmp_eq_u32_e32 vcc, 0, v0
	s_and_b64 vcc, vcc, exec
	s_or_b64 s[50:51], s[50:51], vcc
.LBB0_103:                              ;   in Loop: Header=BB0_101 Depth=3
	s_andn2_b64 s[48:49], s[48:49], exec
	s_and_b64 s[52:53], s[52:53], exec
	s_mov_b64 vcc, -1
	s_or_b64 s[48:49], s[48:49], s[52:53]
	s_and_saveexec_b64 s[52:53], s[50:51]
	s_cbranch_execz .LBB0_100
; %bb.104:                              ;   in Loop: Header=BB0_101 Depth=3
	s_sleep 1
	s_trap 2
	ds_read_b64 v[0:1], v0
	s_andn2_b64 s[48:49], s[48:49], exec
	s_waitcnt lgkmcnt(0)
	v_cmp_ge_u64_e32 vcc, v[0:1], v[42:43]
	s_orn2_b64 vcc, vcc, exec
	s_branch .LBB0_100
.LBB0_105:                              ;   in Loop: Header=BB0_70 Depth=2
	s_or_b64 exec, exec, s[44:45]
	s_and_saveexec_b64 vcc, s[46:47]
	s_xor_b64 vcc, exec, vcc
	s_cbranch_execz .LBB0_107
; %bb.106:                              ;   in Loop: Header=BB0_70 Depth=2
	v_mov_b32_e32 v0, 1
	ds_write_b32 v0, v0
	s_trap 2
.LBB0_107:                              ;   in Loop: Header=BB0_70 Depth=2
	s_or_b64 exec, exec, s[42:43]
	;;#ASMSTART
	s_wakeup
	;;#ASMEND
.LBB0_108:                              ;   in Loop: Header=BB0_70 Depth=2
	s_or_b64 exec, exec, s[40:41]
.LBB0_109:                              ;   in Loop: Header=BB0_70 Depth=2
	s_andn2_saveexec_b64 vcc, s[38:39]
	s_cbranch_execz .LBB0_111
; %bb.110:                              ;   in Loop: Header=BB0_70 Depth=2
	s_waitcnt vmcnt(0) lgkmcnt(0)
	buffer_wbinvl1_vol
	s_barrier
.LBB0_111:                              ;   in Loop: Header=BB0_70 Depth=2
	s_or_b64 exec, exec, vcc
	s_or_b64 exec, exec, s[20:21]
	v_mov_b32_e32 v0, v24
	s_and_saveexec_b64 s[38:39], s[18:19]
	s_cbranch_execz .LBB0_73
.LBB0_112:                              ;   in Loop: Header=BB0_70 Depth=2
	s_waitcnt vmcnt(0) lgkmcnt(0)
	v_ashrrev_i32_e32 v0, 31, v2
	v_mul_lo_u32 v3, v45, v2
	v_mul_lo_u32 v4, v44, v0
	v_mad_u64_u32 v[0:1], s[20:21], v44, v2, 0
	v_add3_u32 v1, v1, v4, v3
	v_lshlrev_b64 v[0:1], 1, v[0:1]
	v_add_co_u32_e32 v40, vcc, v30, v0
	v_and_b32_e32 v0, 7, v34
	v_mul_lo_u32 v0, v0, s54
	v_addc_co_u32_e32 v21, vcc, v31, v1, vcc
	v_ashrrev_i32_e32 v1, 31, v0
	v_lshlrev_b64 v[0:1], 4, v[0:1]
	v_accvgpr_read_b32 v2, a14
	v_add_co_u32_e32 v7, vcc, v2, v0
	v_and_b32_e32 v0, 7, v10
	v_accvgpr_read_b32 v3, a15
	v_mul_lo_u32 v0, v0, s54
	v_addc_co_u32_e32 v25, vcc, v3, v1, vcc
	v_ashrrev_i32_e32 v1, 31, v0
	v_lshlrev_b64 v[0:1], 4, v[0:1]
	v_add_co_u32_e32 v47, vcc, v36, v0
	v_addc_co_u32_e32 v26, vcc, v37, v1, vcc
	v_mov_b32_e32 v1, v10
	v_add_co_u32_e64 v27, vcc, 0, 0
	v_accvgpr_write_b32 a34, v32
	v_add_u32_e32 v46, 1, v34
	v_addc_co_u32_e32 v3, vcc, 1, v1, vcc
	s_mov_b64 s[40:41], 0
	v_mov_b32_e32 v59, v48
	v_mov_b32_e32 v0, v24
	s_branch .LBB0_114
.LBB0_113:                              ;   in Loop: Header=BB0_114 Depth=3
	s_or_b64 exec, exec, s[20:21]
	v_add_co_u32_e32 v40, vcc, v40, v56
	v_addc_co_u32_e32 v21, vcc, v21, v57, vcc
	v_and_b32_e32 v16, 0xffff0000, v8
	v_add_co_u32_e32 v8, vcc, v47, v4
	v_and_b32_e32 v18, 0xffff0000, v9
	v_addc_co_u32_e32 v9, vcc, v26, v5, vcc
	v_sub_u32_e32 v59, v59, v58
	v_lshrrev_b32_e32 v1, 16, v1
	v_lshrrev_b32_e32 v17, 16, v2
	v_cmp_gt_i32_e32 vcc, 1, v59
	v_or3_b32 v2, v16, v1, v27
	v_or3_b32 v4, v18, v17, v27
	v_mov_b32_e32 v5, v3
	s_or_b64 s[40:41], vcc, s[40:41]
	v_add_u32_e32 v0, v0, v20
	global_store_dwordx4 v[8:9], v[2:5], off
	s_andn2_b64 exec, exec, s[40:41]
	s_cbranch_execz .LBB0_146
.LBB0_114:                              ;   Parent Loop BB0_21 Depth=1
                                        ;     Parent Loop BB0_70 Depth=2
                                        ; =>    This Loop Header: Depth=3
                                        ;         Child Loop BB0_122 Depth 4
	v_and_b32_e32 v4, -4, v40
	v_mov_b32_e32 v5, v21
	global_load_dword v8, v[4:5], off glc slc
	v_min_u32_e32 v1, 4, v59
	v_and_b32_e32 v9, 3, v40
	v_lshlrev_b32_e32 v1, 1, v1
	v_add_co_u32_e32 v16, vcc, v9, v1
	v_addc_co_u32_e64 v17, s[20:21], 0, 0, vcc
	v_mov_b32_e32 v2, 0
	v_cmp_lt_u64_e32 vcc, 4, v[16:17]
	v_mov_b32_e32 v49, 0
	s_and_saveexec_b64 s[20:21], vcc
	s_cbranch_execz .LBB0_116
; %bb.115:                              ;   in Loop: Header=BB0_114 Depth=3
	global_load_dword v49, v[4:5], off offset:4 glc slc
.LBB0_116:                              ;   in Loop: Header=BB0_114 Depth=3
	s_or_b64 exec, exec, s[20:21]
	v_cmp_lt_u64_e32 vcc, 8, v[16:17]
	s_and_saveexec_b64 s[20:21], vcc
	s_cbranch_execz .LBB0_118
; %bb.117:                              ;   in Loop: Header=BB0_114 Depth=3
	global_load_dword v2, v[4:5], off offset:8 glc slc
.LBB0_118:                              ;   in Loop: Header=BB0_114 Depth=3
	s_or_b64 exec, exec, s[20:21]
	v_ashrrev_i32_e32 v1, 31, v0
	v_lshlrev_b64 v[4:5], 4, v[0:1]
	v_add_co_u32_e32 v54, vcc, v7, v4
	v_addc_co_u32_e32 v55, vcc, v25, v5, vcc
	global_load_dwordx4 v[16:19], v[54:55], off glc slc
	v_cmp_eq_u32_e32 vcc, 0, v62
	s_and_saveexec_b64 s[42:43], vcc
	s_cbranch_execz .LBB0_130
; %bb.119:                              ;   in Loop: Header=BB0_114 Depth=3
	s_waitcnt vmcnt(0)
	v_cmp_ne_u32_e32 vcc, v46, v17
	v_cmp_ne_u32_e64 s[20:21], v46, v19
	s_or_b64 s[20:21], vcc, s[20:21]
	v_mov_b32_e32 v62, 0
	s_and_saveexec_b64 s[44:45], s[20:21]
	s_cbranch_execz .LBB0_129
; %bb.120:                              ;   in Loop: Header=BB0_114 Depth=3
	s_mov_b32 s50, 1
	s_mov_b64 s[46:47], 0
	v_mov_b32_e32 v62, 0
	s_branch .LBB0_122
.LBB0_121:                              ;   in Loop: Header=BB0_122 Depth=4
	s_or_b64 exec, exec, s[48:49]
	s_and_b64 s[20:21], exec, s[20:21]
	s_or_b64 s[46:47], s[20:21], s[46:47]
	s_andn2_b64 exec, exec, s[46:47]
	s_cbranch_execz .LBB0_128
.LBB0_122:                              ;   Parent Loop BB0_21 Depth=1
                                        ;     Parent Loop BB0_70 Depth=2
                                        ;       Parent Loop BB0_114 Depth=3
                                        ; =>      This Inner Loop Header: Depth=4
	global_load_dwordx4 v[16:19], v[54:55], off glc slc
	s_add_i32 s50, s50, 1
	s_cmpk_lg_i32 s50, 0x2710
	s_cbranch_scc1 .LBB0_126
; %bb.123:                              ;   in Loop: Header=BB0_122 Depth=4
	s_trap 2
	ds_read_b64 v[32:33], v0
	s_waitcnt vmcnt(0) lgkmcnt(0)
	flat_load_dword v1, v[32:33] glc
	s_waitcnt vmcnt(0) lgkmcnt(0)
	buffer_invl2
	buffer_wbinvl1_vol
	v_cmp_ne_u32_e32 vcc, 0, v1
	s_and_saveexec_b64 s[20:21], vcc
	s_cbranch_execz .LBB0_125
; %bb.124:                              ;   in Loop: Header=BB0_122 Depth=4
	v_mov_b32_e32 v62, 1
	ds_write_b32 v0, v1
	s_trap 2
.LBB0_125:                              ;   in Loop: Header=BB0_122 Depth=4
	s_or_b64 exec, exec, s[20:21]
	s_mov_b32 s50, 0
	v_mov_b32_e32 v1, v62
	v_cmp_eq_u32_e32 vcc, 0, v1
	s_mov_b64 s[20:21], -1
	s_and_saveexec_b64 s[48:49], vcc
	s_cbranch_execz .LBB0_121
	s_branch .LBB0_127
.LBB0_126:                              ;   in Loop: Header=BB0_122 Depth=4
	v_mov_b32_e32 v1, 0
	v_cmp_eq_u32_e32 vcc, 0, v1
	s_mov_b64 s[20:21], -1
	s_and_saveexec_b64 s[48:49], vcc
	s_cbranch_execz .LBB0_121
.LBB0_127:                              ;   in Loop: Header=BB0_122 Depth=4
	s_waitcnt vmcnt(0)
	v_cmp_eq_u32_e32 vcc, v46, v17
	v_cmp_eq_u32_e64 s[20:21], v46, v19
	s_and_b64 s[20:21], vcc, s[20:21]
	s_orn2_b64 s[20:21], s[20:21], exec
	s_branch .LBB0_121
.LBB0_128:                              ;   in Loop: Header=BB0_114 Depth=3
	s_or_b64 exec, exec, s[46:47]
.LBB0_129:                              ;   in Loop: Header=BB0_114 Depth=3
	s_or_b64 exec, exec, s[44:45]
.LBB0_130:                              ;   in Loop: Header=BB0_114 Depth=3
	s_or_b64 exec, exec, s[42:43]
	v_lshlrev_b32_e32 v9, 3, v40
	s_waitcnt vmcnt(1)
	v_alignbit_b32 v8, v49, v8, v9
	s_waitcnt vmcnt(0)
	v_lshlrev_b32_e32 v32, 16, v16
	v_lshlrev_b32_e32 v54, 16, v8
	v_pk_mul_f32 v[54:55], v[32:33], v[54:55] op_sel_hi:[0,1]
	v_and_b32_e32 v1, 0x7f800000, v54
	v_cmp_ne_u32_e32 vcc, s56, v1
                                        ; implicit-def: $vgpr1
	s_and_saveexec_b64 s[20:21], vcc
	s_xor_b64 s[20:21], exec, s[20:21]
; %bb.131:                              ;   in Loop: Header=BB0_114 Depth=3
	v_bfe_u32 v1, v54, 16, 1
	v_add3_u32 v1, v54, v1, s57
                                        ; implicit-def: $vgpr54_vgpr55
; %bb.132:                              ;   in Loop: Header=BB0_114 Depth=3
	s_andn2_saveexec_b64 s[20:21], s[20:21]
; %bb.133:                              ;   in Loop: Header=BB0_114 Depth=3
	v_or_b32_e32 v1, 0x10000, v54
	v_cmp_eq_u32_sdwa vcc, v54, v41 src0_sel:WORD_0 src1_sel:DWORD
	v_cndmask_b32_e32 v1, v1, v54, vcc
; %bb.134:                              ;   in Loop: Header=BB0_114 Depth=3
	s_or_b64 exec, exec, s[20:21]
	v_mov_b32_e32 v17, v16
	v_and_b32_e32 v16, 0xffff0000, v17
	v_and_b32_e32 v8, 0xffff0000, v8
	v_pk_mul_f32 v[16:17], v[16:17], v[8:9] op_sel_hi:[0,1]
	v_and_b32_e32 v8, 0x7f800000, v16
	v_cmp_ne_u32_e32 vcc, s56, v8
                                        ; implicit-def: $vgpr8
	s_and_saveexec_b64 s[20:21], vcc
	s_xor_b64 s[20:21], exec, s[20:21]
; %bb.135:                              ;   in Loop: Header=BB0_114 Depth=3
	v_bfe_u32 v8, v16, 16, 1
	v_add3_u32 v8, v16, v8, s57
                                        ; implicit-def: $vgpr16_vgpr17
; %bb.136:                              ;   in Loop: Header=BB0_114 Depth=3
	s_andn2_saveexec_b64 s[20:21], s[20:21]
; %bb.137:                              ;   in Loop: Header=BB0_114 Depth=3
	v_or_b32_e32 v8, 0x10000, v16
	v_cmp_eq_u32_sdwa vcc, v16, v41 src0_sel:WORD_0 src1_sel:DWORD
	v_cndmask_b32_e32 v8, v8, v16, vcc
; %bb.138:                              ;   in Loop: Header=BB0_114 Depth=3
	s_or_b64 exec, exec, s[20:21]
	v_alignbit_b32 v9, v2, v49, v9
	v_lshlrev_b32_e32 v2, 16, v9
	v_lshlrev_b32_e32 v16, 16, v18
	v_pk_mul_f32 v[16:17], v[16:17], v[2:3] op_sel_hi:[0,1]
	v_and_b32_e32 v2, 0x7f800000, v16
	v_cmp_ne_u32_e32 vcc, s56, v2
                                        ; implicit-def: $vgpr2
	s_and_saveexec_b64 s[20:21], vcc
	s_xor_b64 s[20:21], exec, s[20:21]
; %bb.139:                              ;   in Loop: Header=BB0_114 Depth=3
	v_bfe_u32 v2, v16, 16, 1
	v_add3_u32 v2, v16, v2, s57
                                        ; implicit-def: $vgpr16_vgpr17
; %bb.140:                              ;   in Loop: Header=BB0_114 Depth=3
	s_andn2_saveexec_b64 s[20:21], s[20:21]
; %bb.141:                              ;   in Loop: Header=BB0_114 Depth=3
	v_or_b32_e32 v2, 0x10000, v16
	v_cmp_eq_u32_sdwa vcc, v16, v41 src0_sel:WORD_0 src1_sel:DWORD
	v_cndmask_b32_e32 v2, v2, v16, vcc
; %bb.142:                              ;   in Loop: Header=BB0_114 Depth=3
	s_or_b64 exec, exec, s[20:21]
	v_mov_b32_e32 v17, v18
	v_and_b32_e32 v16, 0xffff0000, v17
	v_and_b32_e32 v18, 0xffff0000, v9
	v_pk_mul_f32 v[16:17], v[16:17], v[18:19] op_sel_hi:[0,1]
	v_and_b32_e32 v9, 0x7f800000, v16
	v_cmp_ne_u32_e32 vcc, s56, v9
                                        ; implicit-def: $vgpr9
	s_and_saveexec_b64 s[20:21], vcc
	s_xor_b64 s[20:21], exec, s[20:21]
; %bb.143:                              ;   in Loop: Header=BB0_114 Depth=3
	v_bfe_u32 v9, v16, 16, 1
	v_add3_u32 v9, v16, v9, s57
                                        ; implicit-def: $vgpr16_vgpr17
; %bb.144:                              ;   in Loop: Header=BB0_114 Depth=3
	s_andn2_saveexec_b64 s[20:21], s[20:21]
	s_cbranch_execz .LBB0_113
; %bb.145:                              ;   in Loop: Header=BB0_114 Depth=3
	v_or_b32_e32 v9, 0x10000, v16
	v_cmp_eq_u32_sdwa vcc, v16, v41 src0_sel:WORD_0 src1_sel:DWORD
	v_cndmask_b32_e32 v9, v9, v16, vcc
	s_branch .LBB0_113
.LBB0_146:                              ;   in Loop: Header=BB0_70 Depth=2
	s_or_b64 exec, exec, s[40:41]
	v_accvgpr_read_b32 v32, a34
	s_or_b64 exec, exec, s[38:39]
	s_and_saveexec_b64 s[20:21], s[10:11]
	s_cbranch_execz .LBB0_74
.LBB0_147:                              ;   in Loop: Header=BB0_70 Depth=2
	s_and_saveexec_b64 vcc, s[30:31]
	s_xor_b64 s[38:39], exec, vcc
	s_cbranch_execz .LBB0_162
; %bb.148:                              ;   in Loop: Header=BB0_70 Depth=2
	s_and_saveexec_b64 s[40:41], s[12:13]
	s_cbranch_execz .LBB0_161
; %bb.149:                              ;   in Loop: Header=BB0_70 Depth=2
	s_mov_b64 s[44:45], exec
	v_mbcnt_lo_u32_b32 v1, s44, 0
	v_mbcnt_hi_u32_b32 v1, s45, v1
	v_cmp_eq_u32_e32 vcc, 0, v1
	s_waitcnt vmcnt(0) lgkmcnt(0)
	buffer_wbinvl1_vol
	s_and_saveexec_b64 s[42:43], vcc
	s_cbranch_execz .LBB0_151
; %bb.150:                              ;   in Loop: Header=BB0_70 Depth=2
	s_bcnt1_i32_b64 vcc_lo, s[44:45]
	v_mov_b32_e32 v40, vcc_lo
	ds_add_u64 v0, v[40:41]
	s_trap 2
.LBB0_151:                              ;   in Loop: Header=BB0_70 Depth=2
	s_or_b64 exec, exec, s[42:43]
	s_trap 2
	ds_read_b64 v[2:3], v0
	v_accvgpr_read_b32 v4, a20
	v_add_co_u32_e32 v42, vcc, v42, v4
	v_accvgpr_read_b32 v1, a37
	v_addc_co_u32_e32 v43, vcc, v43, v1, vcc
	s_waitcnt lgkmcnt(0)
	v_cmp_lt_u64_e32 vcc, v[2:3], v[42:43]
	s_and_saveexec_b64 s[42:43], vcc
	s_cbranch_execz .LBB0_160
; %bb.152:                              ;   in Loop: Header=BB0_70 Depth=2
	s_mov_b32 s60, 0
	s_mov_b64 s[44:45], 0
                                        ; implicit-def: $sgpr46_sgpr47
                                        ; implicit-def: $sgpr48_sgpr49
	s_branch .LBB0_154
.LBB0_153:                              ;   in Loop: Header=BB0_154 Depth=3
	s_or_b64 exec, exec, s[52:53]
	s_and_b64 vcc, exec, vcc
	s_or_b64 s[44:45], vcc, s[44:45]
	s_andn2_b64 vcc, s[46:47], exec
	s_and_b64 s[46:47], s[48:49], exec
	s_or_b64 s[46:47], vcc, s[46:47]
	s_andn2_b64 exec, exec, s[44:45]
	s_cbranch_execz .LBB0_158
.LBB0_154:                              ;   Parent Loop BB0_21 Depth=1
                                        ;     Parent Loop BB0_70 Depth=2
                                        ; =>    This Inner Loop Header: Depth=3
	s_add_i32 s60, s60, 1
	s_cmpk_lg_i32 s60, 0x2710
	s_cselect_b64 s[50:51], -1, 0
	s_and_b64 vcc, exec, s[50:51]
                                        ; implicit-def: $sgpr52_sgpr53
	s_cbranch_vccnz .LBB0_156
; %bb.155:                              ;   in Loop: Header=BB0_154 Depth=3
	s_trap 2
	ds_read_b64 v[2:3], v0
	s_andn2_b64 s[50:51], s[50:51], exec
	s_mov_b32 s60, 0
	s_mov_b64 s[52:53], -1
	s_waitcnt lgkmcnt(0)
	flat_load_dword v1, v[2:3] glc
	s_waitcnt vmcnt(0) lgkmcnt(0)
	buffer_invl2
	buffer_wbinvl1_vol
	v_cmp_eq_u32_e32 vcc, 0, v1
	s_and_b64 vcc, vcc, exec
	s_or_b64 s[50:51], s[50:51], vcc
.LBB0_156:                              ;   in Loop: Header=BB0_154 Depth=3
	s_andn2_b64 s[48:49], s[48:49], exec
	s_and_b64 s[52:53], s[52:53], exec
	s_mov_b64 vcc, -1
	s_or_b64 s[48:49], s[48:49], s[52:53]
	s_and_saveexec_b64 s[52:53], s[50:51]
	s_cbranch_execz .LBB0_153
; %bb.157:                              ;   in Loop: Header=BB0_154 Depth=3
	s_sleep 1
	s_trap 2
	ds_read_b64 v[2:3], v0
	s_andn2_b64 s[48:49], s[48:49], exec
	s_waitcnt lgkmcnt(0)
	v_cmp_ge_u64_e32 vcc, v[2:3], v[42:43]
	s_orn2_b64 vcc, vcc, exec
	s_branch .LBB0_153
.LBB0_158:                              ;   in Loop: Header=BB0_70 Depth=2
	s_or_b64 exec, exec, s[44:45]
	s_and_saveexec_b64 vcc, s[46:47]
	s_xor_b64 vcc, exec, vcc
	s_cbranch_execz .LBB0_160
; %bb.159:                              ;   in Loop: Header=BB0_70 Depth=2
	v_mov_b32_e32 v1, 1
	ds_write_b32 v0, v1
	s_trap 2
.LBB0_160:                              ;   in Loop: Header=BB0_70 Depth=2
	s_or_b64 exec, exec, s[42:43]
	;;#ASMSTART
	s_wakeup
	;;#ASMEND
.LBB0_161:                              ;   in Loop: Header=BB0_70 Depth=2
	s_or_b64 exec, exec, s[40:41]
.LBB0_162:                              ;   in Loop: Header=BB0_70 Depth=2
	s_andn2_saveexec_b64 vcc, s[38:39]
	s_cbranch_execz .LBB0_164
; %bb.163:                              ;   in Loop: Header=BB0_70 Depth=2
	s_waitcnt vmcnt(0) lgkmcnt(0)
	buffer_wbinvl1_vol
	s_barrier
.LBB0_164:                              ;   in Loop: Header=BB0_70 Depth=2
	s_or_b64 exec, exec, vcc
	s_or_b64 exec, exec, s[20:21]
	s_and_saveexec_b64 s[20:21], s[14:15]
	s_cbranch_execnz .LBB0_75
	s_branch .LBB0_76
.LBB0_165:                              ;   in Loop: Header=BB0_21 Depth=1
	v_pk_mov_b32 v[16:17], v[10:11], v[10:11] op_sel:[0,1]
	s_and_saveexec_b64 s[20:21], s[18:19]
	s_cbranch_execnz .LBB0_167
	s_branch .LBB0_212
.LBB0_166:                              ;   in Loop: Header=BB0_21 Depth=1
	v_accvgpr_read_b32 v6, a42
	v_pk_mov_b32 v[16:17], v[10:11], v[10:11] op_sel:[0,1]
	v_accvgpr_read_b32 v31, a31
	v_accvgpr_read_b32 v7, a43
	s_and_saveexec_b64 s[20:21], s[18:19]
	s_cbranch_execz .LBB0_212
.LBB0_167:                              ;   in Loop: Header=BB0_21 Depth=1
	flat_load_dword v4, v[22:23]
	s_waitcnt vmcnt(0) lgkmcnt(0)
	v_accvgpr_read_b32 v2, a8
	v_accvgpr_read_b32 v3, a9
	v_add_co_u32_e32 v5, vcc, v2, v6
	v_and_b32_e32 v2, 7, v34
	v_addc_co_u32_e32 v8, vcc, v3, v7, vcc
	v_accvgpr_read_b32 v0, a26
	v_mul_lo_u32 v2, v2, s54
	v_add_co_u32_e32 v0, vcc, v0, v6
	v_accvgpr_read_b32 v1, a27
	v_ashrrev_i32_e32 v3, 31, v2
	v_addc_co_u32_e32 v1, vcc, v1, v7, vcc
	v_lshlrev_b64 v[2:3], 4, v[2:3]
	v_accvgpr_read_b32 v10, a14
	v_accvgpr_read_b32 v11, a15
	v_add_co_u32_e32 v7, vcc, v10, v2
	v_addc_co_u32_e32 v21, vcc, v11, v3, vcc
	v_add_u32_e32 v6, 1, v34
	s_mov_b64 s[38:39], 0
	v_mov_b32_e32 v18, v24
	v_ashrrev_i32_e32 v9, 31, v4
	v_mul_lo_u32 v10, v45, v4
	v_mad_u64_u32 v[2:3], s[18:19], v44, v4, 0
	v_mul_lo_u32 v4, v44, v9
	v_add3_u32 v3, v3, v4, v10
	v_lshlrev_b64 v[2:3], 1, v[2:3]
	v_add_co_u32_e32 v2, vcc, v5, v2
	v_addc_co_u32_e32 v3, vcc, v8, v3, vcc
	v_accvgpr_read_b32 v4, a24
	v_accvgpr_read_b32 v5, a25
	v_add_co_u32_e32 v10, vcc, v2, v4
	v_addc_co_u32_e32 v11, vcc, v3, v5, vcc
	s_branch .LBB0_169
.LBB0_168:                              ;   in Loop: Header=BB0_169 Depth=2
	v_add_co_u32_e32 v10, vcc, v10, v56
	v_addc_co_u32_e32 v11, vcc, v11, v57, vcc
	v_add_co_u32_e32 v0, vcc, v0, v56
	v_addc_co_u32_e32 v1, vcc, v1, v57, vcc
	v_sub_u32_e32 v48, v48, v58
	v_cmp_gt_i32_e32 vcc, 1, v48
	s_or_b64 s[38:39], vcc, s[38:39]
	v_add_u32_e32 v18, v18, v20
	s_andn2_b64 exec, exec, s[38:39]
	s_cbranch_execz .LBB0_211
.LBB0_169:                              ;   Parent Loop BB0_21 Depth=1
                                        ; =>  This Loop Header: Depth=2
                                        ;       Child Loop BB0_177 Depth 3
	v_and_b32_e32 v2, -4, v10
	v_mov_b32_e32 v3, v11
	global_load_dword v27, v[2:3], off glc slc
	v_min_u32_e32 v4, 4, v48
	v_and_b32_e32 v5, 3, v10
	v_lshlrev_b32_e32 v4, 1, v4
	v_add_co_u32_e32 v4, vcc, v5, v4
	v_addc_co_u32_e64 v5, s[18:19], 0, 0, vcc
	v_mov_b32_e32 v25, 0
	v_cmp_lt_u64_e32 vcc, 4, v[4:5]
	v_mov_b32_e32 v26, 0
	s_and_saveexec_b64 s[18:19], vcc
	s_cbranch_execz .LBB0_171
; %bb.170:                              ;   in Loop: Header=BB0_169 Depth=2
	global_load_dword v26, v[2:3], off offset:4 glc slc
.LBB0_171:                              ;   in Loop: Header=BB0_169 Depth=2
	s_or_b64 exec, exec, s[18:19]
	v_cmp_lt_u64_e32 vcc, 8, v[4:5]
	s_and_saveexec_b64 s[18:19], vcc
	s_cbranch_execz .LBB0_173
; %bb.172:                              ;   in Loop: Header=BB0_169 Depth=2
	global_load_dword v25, v[2:3], off offset:8 glc slc
.LBB0_173:                              ;   in Loop: Header=BB0_169 Depth=2
	s_or_b64 exec, exec, s[18:19]
	v_ashrrev_i32_e32 v19, 31, v18
	v_lshlrev_b64 v[2:3], 4, v[18:19]
	v_add_co_u32_e32 v46, vcc, v7, v2
	v_addc_co_u32_e32 v47, vcc, v21, v3, vcc
	global_load_dwordx4 v[2:5], v[46:47], off glc slc
	v_cmp_eq_u32_e32 vcc, 0, v62
	s_and_saveexec_b64 s[40:41], vcc
	s_cbranch_execz .LBB0_185
; %bb.174:                              ;   in Loop: Header=BB0_169 Depth=2
	s_waitcnt vmcnt(0)
	v_cmp_ne_u32_e32 vcc, v6, v3
	v_cmp_ne_u32_e64 s[18:19], v6, v5
	s_or_b64 s[18:19], vcc, s[18:19]
	v_mov_b32_e32 v62, 0
	s_and_saveexec_b64 s[42:43], s[18:19]
	s_cbranch_execz .LBB0_184
; %bb.175:                              ;   in Loop: Header=BB0_169 Depth=2
	s_mov_b32 s48, 1
	s_mov_b64 s[44:45], 0
	v_mov_b32_e32 v62, 0
	s_branch .LBB0_177
.LBB0_176:                              ;   in Loop: Header=BB0_177 Depth=3
	s_or_b64 exec, exec, s[46:47]
	s_and_b64 s[18:19], exec, s[18:19]
	s_or_b64 s[44:45], s[18:19], s[44:45]
	s_andn2_b64 exec, exec, s[44:45]
	s_cbranch_execz .LBB0_183
.LBB0_177:                              ;   Parent Loop BB0_21 Depth=1
                                        ;     Parent Loop BB0_169 Depth=2
                                        ; =>    This Inner Loop Header: Depth=3
	global_load_dwordx4 v[2:5], v[46:47], off glc slc
	s_add_i32 s48, s48, 1
	s_cmpk_lg_i32 s48, 0x2710
	s_cbranch_scc1 .LBB0_181
; %bb.178:                              ;   in Loop: Header=BB0_177 Depth=3
	s_trap 2
	ds_read_b64 v[8:9], v0
	s_waitcnt vmcnt(0) lgkmcnt(0)
	flat_load_dword v8, v[8:9] glc
	s_waitcnt vmcnt(0) lgkmcnt(0)
	buffer_invl2
	buffer_wbinvl1_vol
	v_cmp_ne_u32_e32 vcc, 0, v8
	s_and_saveexec_b64 s[18:19], vcc
	s_cbranch_execz .LBB0_180
; %bb.179:                              ;   in Loop: Header=BB0_177 Depth=3
	v_mov_b32_e32 v62, 1
	ds_write_b32 v0, v8
	s_trap 2
.LBB0_180:                              ;   in Loop: Header=BB0_177 Depth=3
	s_or_b64 exec, exec, s[18:19]
	s_mov_b32 s48, 0
	v_mov_b32_e32 v8, v62
	v_cmp_eq_u32_e32 vcc, 0, v8
	s_mov_b64 s[18:19], -1
	s_and_saveexec_b64 s[46:47], vcc
	s_cbranch_execz .LBB0_176
	s_branch .LBB0_182
.LBB0_181:                              ;   in Loop: Header=BB0_177 Depth=3
	v_mov_b32_e32 v8, 0
	v_cmp_eq_u32_e32 vcc, 0, v8
	s_mov_b64 s[18:19], -1
	s_and_saveexec_b64 s[46:47], vcc
	s_cbranch_execz .LBB0_176
.LBB0_182:                              ;   in Loop: Header=BB0_177 Depth=3
	s_waitcnt vmcnt(0)
	v_cmp_eq_u32_e32 vcc, v6, v3
	v_cmp_eq_u32_e64 s[18:19], v6, v5
	s_and_b64 s[18:19], vcc, s[18:19]
	s_orn2_b64 s[18:19], s[18:19], exec
	s_branch .LBB0_176
.LBB0_183:                              ;   in Loop: Header=BB0_169 Depth=2
	s_or_b64 exec, exec, s[44:45]
.LBB0_184:                              ;   in Loop: Header=BB0_169 Depth=2
	s_or_b64 exec, exec, s[42:43]
.LBB0_185:                              ;   in Loop: Header=BB0_169 Depth=2
	s_or_b64 exec, exec, s[40:41]
	v_lshlrev_b32_e32 v9, 3, v10
	s_waitcnt vmcnt(0)
	v_alignbit_b32 v3, v26, v27, v9
	v_lshlrev_b32_e32 v8, 16, v2
	v_lshlrev_b32_e32 v30, 16, v3
	v_pk_mul_f32 v[54:55], v[8:9], v[30:31] op_sel_hi:[0,1]
	v_and_b32_e32 v5, 0x7f800000, v54
	v_cmp_ne_u32_e32 vcc, s56, v5
                                        ; implicit-def: $vgpr5
	s_and_saveexec_b64 s[18:19], vcc
	s_xor_b64 s[18:19], exec, s[18:19]
; %bb.186:                              ;   in Loop: Header=BB0_169 Depth=2
	v_bfe_u32 v5, v54, 16, 1
	v_add3_u32 v5, v54, v5, s57
                                        ; implicit-def: $vgpr54_vgpr55
; %bb.187:                              ;   in Loop: Header=BB0_169 Depth=2
	s_andn2_saveexec_b64 s[18:19], s[18:19]
; %bb.188:                              ;   in Loop: Header=BB0_169 Depth=2
	v_or_b32_e32 v5, 0x10000, v54
	v_cmp_eq_u32_sdwa vcc, v54, v41 src0_sel:WORD_0 src1_sel:DWORD
	v_cndmask_b32_e32 v5, v5, v54, vcc
; %bb.189:                              ;   in Loop: Header=BB0_169 Depth=2
	s_or_b64 exec, exec, s[18:19]
	v_mov_b32_e32 v19, v2
	v_and_b32_e32 v2, 0xffff0000, v19
	v_and_b32_e32 v8, 0xffff0000, v3
	v_pk_mul_f32 v[2:3], v[2:3], v[8:9] op_sel_hi:[0,1]
	v_and_b32_e32 v3, 0x7f800000, v2
	v_cmp_ne_u32_e32 vcc, s56, v3
                                        ; implicit-def: $vgpr8
	s_and_saveexec_b64 s[18:19], vcc
	s_xor_b64 s[18:19], exec, s[18:19]
; %bb.190:                              ;   in Loop: Header=BB0_169 Depth=2
	v_bfe_u32 v3, v2, 16, 1
	v_add3_u32 v8, v2, v3, s57
                                        ; implicit-def: $vgpr2_vgpr3
; %bb.191:                              ;   in Loop: Header=BB0_169 Depth=2
	s_andn2_saveexec_b64 s[18:19], s[18:19]
; %bb.192:                              ;   in Loop: Header=BB0_169 Depth=2
	v_or_b32_e32 v3, 0x10000, v2
	v_cmp_eq_u32_sdwa vcc, v2, v41 src0_sel:WORD_0 src1_sel:DWORD
	v_cndmask_b32_e32 v8, v3, v2, vcc
; %bb.193:                              ;   in Loop: Header=BB0_169 Depth=2
	s_or_b64 exec, exec, s[18:19]
	v_alignbit_b32 v19, v25, v26, v9
	v_lshlrev_b32_e32 v2, 16, v19
	v_lshlrev_b32_e32 v26, 16, v4
	v_pk_mul_f32 v[2:3], v[26:27], v[2:3] op_sel_hi:[0,1]
	v_and_b32_e32 v3, 0x7f800000, v2
	v_cmp_ne_u32_e32 vcc, s56, v3
                                        ; implicit-def: $vgpr9
	s_and_saveexec_b64 s[18:19], vcc
	s_xor_b64 s[18:19], exec, s[18:19]
; %bb.194:                              ;   in Loop: Header=BB0_169 Depth=2
	v_bfe_u32 v3, v2, 16, 1
	v_add3_u32 v9, v2, v3, s57
                                        ; implicit-def: $vgpr2_vgpr3
; %bb.195:                              ;   in Loop: Header=BB0_169 Depth=2
	s_andn2_saveexec_b64 s[18:19], s[18:19]
; %bb.196:                              ;   in Loop: Header=BB0_169 Depth=2
	v_or_b32_e32 v3, 0x10000, v2
	v_cmp_eq_u32_sdwa vcc, v2, v41 src0_sel:WORD_0 src1_sel:DWORD
	v_cndmask_b32_e32 v9, v3, v2, vcc
; %bb.197:                              ;   in Loop: Header=BB0_169 Depth=2
	s_or_b64 exec, exec, s[18:19]
	v_mov_b32_e32 v3, v4
	v_and_b32_e32 v2, 0xffff0000, v3
	v_and_b32_e32 v4, 0xffff0000, v19
	v_pk_mul_f32 v[2:3], v[2:3], v[4:5] op_sel_hi:[0,1]
	v_and_b32_e32 v3, 0x7f800000, v2
	v_cmp_ne_u32_e32 vcc, s56, v3
                                        ; implicit-def: $vgpr4
	s_and_saveexec_b64 s[18:19], vcc
	s_xor_b64 s[18:19], exec, s[18:19]
; %bb.198:                              ;   in Loop: Header=BB0_169 Depth=2
	v_bfe_u32 v3, v2, 16, 1
	v_add3_u32 v4, v2, v3, s57
                                        ; implicit-def: $vgpr2_vgpr3
; %bb.199:                              ;   in Loop: Header=BB0_169 Depth=2
	s_andn2_saveexec_b64 s[18:19], s[18:19]
; %bb.200:                              ;   in Loop: Header=BB0_169 Depth=2
	v_or_b32_e32 v3, 0x10000, v2
	v_cmp_eq_u32_sdwa vcc, v2, v41 src0_sel:WORD_0 src1_sel:DWORD
	v_cndmask_b32_e32 v4, v3, v2, vcc
; %bb.201:                              ;   in Loop: Header=BB0_169 Depth=2
	s_or_b64 exec, exec, s[18:19]
	v_cmp_lt_u32_e32 vcc, 3, v48
	s_and_b64 s[18:19], s[16:17], vcc
	v_cndmask_b32_e64 v2, 0, 1, s[18:19]
	;;#ASMSTART
	;;#ASMEND
	v_cmp_ne_u32_e64 s[18:19], 0, v2
	s_cmp_lg_u64 s[18:19], exec
	s_mov_b64 s[18:19], -1
	s_cbranch_scc0 .LBB0_207
; %bb.202:                              ;   in Loop: Header=BB0_169 Depth=2
	v_cmp_ne_u32_e64 s[18:19], 1, v48
	flat_store_short_d16_hi v[0:1], v5
	s_and_saveexec_b64 s[40:41], s[18:19]
	s_cbranch_execnz .LBB0_209
; %bb.203:                              ;   in Loop: Header=BB0_169 Depth=2
	s_or_b64 exec, exec, s[40:41]
	v_cmp_lt_u32_e64 s[18:19], 2, v48
	s_and_saveexec_b64 s[40:41], s[18:19]
	s_cbranch_execnz .LBB0_210
.LBB0_204:                              ;   in Loop: Header=BB0_169 Depth=2
	s_or_b64 exec, exec, s[40:41]
	s_and_saveexec_b64 s[18:19], vcc
	s_cbranch_execz .LBB0_206
.LBB0_205:                              ;   in Loop: Header=BB0_169 Depth=2
	flat_store_short_d16_hi v[0:1], v4 offset:6
.LBB0_206:                              ;   in Loop: Header=BB0_169 Depth=2
	s_or_b64 exec, exec, s[18:19]
	s_mov_b64 s[18:19], 0
.LBB0_207:                              ;   in Loop: Header=BB0_169 Depth=2
	s_and_b64 vcc, exec, s[18:19]
	s_cbranch_vccz .LBB0_168
; %bb.208:                              ;   in Loop: Header=BB0_169 Depth=2
	v_lshrrev_b32_e32 v2, 16, v5
	v_lshrrev_b32_e32 v3, 16, v9
	v_and_or_b32 v2, v8, s58, v2
	v_and_or_b32 v3, v4, s58, v3
	global_store_dwordx2 v[0:1], v[2:3], off
	s_branch .LBB0_168
.LBB0_209:                              ;   in Loop: Header=BB0_169 Depth=2
	flat_store_short_d16_hi v[0:1], v8 offset:2
	s_or_b64 exec, exec, s[40:41]
	v_cmp_lt_u32_e64 s[18:19], 2, v48
	s_and_saveexec_b64 s[40:41], s[18:19]
	s_cbranch_execz .LBB0_204
.LBB0_210:                              ;   in Loop: Header=BB0_169 Depth=2
	flat_store_short_d16_hi v[0:1], v9 offset:4
	s_or_b64 exec, exec, s[40:41]
	s_and_saveexec_b64 s[18:19], vcc
	s_cbranch_execnz .LBB0_205
	s_branch .LBB0_206
.LBB0_211:                              ;   in Loop: Header=BB0_21 Depth=1
	s_or_b64 exec, exec, s[38:39]
.LBB0_212:                              ;   in Loop: Header=BB0_21 Depth=1
	s_or_b64 exec, exec, s[20:21]
	v_accvgpr_read_b32 v5, a3
	v_accvgpr_read_b32 v9, a7
	;; [unrolled: 1-line block ×4, first 2 shown]
	s_and_saveexec_b64 s[18:19], s[10:11]
	s_cbranch_execz .LBB0_231
; %bb.213:                              ;   in Loop: Header=BB0_21 Depth=1
	s_and_saveexec_b64 s[20:21], s[30:31]
	s_xor_b64 s[20:21], exec, s[20:21]
	s_cbranch_execz .LBB0_228
; %bb.214:                              ;   in Loop: Header=BB0_21 Depth=1
	s_and_saveexec_b64 s[38:39], s[12:13]
	s_cbranch_execz .LBB0_227
; %bb.215:                              ;   in Loop: Header=BB0_21 Depth=1
	s_mov_b64 s[42:43], exec
	v_mbcnt_lo_u32_b32 v0, s42, 0
	v_mbcnt_hi_u32_b32 v0, s43, v0
	v_cmp_eq_u32_e32 vcc, 0, v0
	s_waitcnt vmcnt(0) lgkmcnt(0)
	buffer_wbinvl1_vol
	s_and_saveexec_b64 s[40:41], vcc
	s_cbranch_execz .LBB0_217
; %bb.216:                              ;   in Loop: Header=BB0_21 Depth=1
	s_bcnt1_i32_b64 vcc_lo, s[42:43]
	v_mov_b32_e32 v40, vcc_lo
	ds_add_u64 v0, v[40:41]
	s_trap 2
.LBB0_217:                              ;   in Loop: Header=BB0_21 Depth=1
	s_or_b64 exec, exec, s[40:41]
	s_trap 2
	ds_read_b64 v[0:1], v0
	v_accvgpr_read_b32 v2, a20
	v_add_co_u32_e32 v42, vcc, v42, v2
	v_accvgpr_read_b32 v3, a37
	v_addc_co_u32_e32 v43, vcc, v43, v3, vcc
	s_waitcnt lgkmcnt(0)
	v_cmp_lt_u64_e32 vcc, v[0:1], v[42:43]
	s_and_saveexec_b64 s[40:41], vcc
	s_cbranch_execz .LBB0_226
; %bb.218:                              ;   in Loop: Header=BB0_21 Depth=1
	s_mov_b32 s52, 0
	s_mov_b64 s[42:43], 0
                                        ; implicit-def: $sgpr44_sgpr45
                                        ; implicit-def: $sgpr46_sgpr47
	s_branch .LBB0_220
.LBB0_219:                              ;   in Loop: Header=BB0_220 Depth=2
	s_or_b64 exec, exec, s[50:51]
	s_and_b64 vcc, exec, vcc
	s_or_b64 s[42:43], vcc, s[42:43]
	s_andn2_b64 vcc, s[44:45], exec
	s_and_b64 s[44:45], s[46:47], exec
	s_or_b64 s[44:45], vcc, s[44:45]
	s_andn2_b64 exec, exec, s[42:43]
	s_cbranch_execz .LBB0_224
.LBB0_220:                              ;   Parent Loop BB0_21 Depth=1
                                        ; =>  This Inner Loop Header: Depth=2
	s_add_i32 s52, s52, 1
	s_cmpk_lg_i32 s52, 0x2710
	s_cselect_b64 s[48:49], -1, 0
	s_and_b64 vcc, exec, s[48:49]
                                        ; implicit-def: $sgpr50_sgpr51
	s_cbranch_vccnz .LBB0_222
; %bb.221:                              ;   in Loop: Header=BB0_220 Depth=2
	s_trap 2
	ds_read_b64 v[0:1], v0
	s_andn2_b64 s[48:49], s[48:49], exec
	s_mov_b32 s52, 0
	s_mov_b64 s[50:51], -1
	s_waitcnt lgkmcnt(0)
	flat_load_dword v0, v[0:1] glc
	s_waitcnt vmcnt(0) lgkmcnt(0)
	buffer_invl2
	buffer_wbinvl1_vol
	v_cmp_eq_u32_e32 vcc, 0, v0
	s_and_b64 vcc, vcc, exec
	s_or_b64 s[48:49], s[48:49], vcc
.LBB0_222:                              ;   in Loop: Header=BB0_220 Depth=2
	s_andn2_b64 s[46:47], s[46:47], exec
	s_and_b64 s[50:51], s[50:51], exec
	s_mov_b64 vcc, -1
	s_or_b64 s[46:47], s[46:47], s[50:51]
	s_and_saveexec_b64 s[50:51], s[48:49]
	s_cbranch_execz .LBB0_219
; %bb.223:                              ;   in Loop: Header=BB0_220 Depth=2
	s_sleep 1
	s_trap 2
	ds_read_b64 v[0:1], v0
	s_andn2_b64 s[46:47], s[46:47], exec
	s_waitcnt lgkmcnt(0)
	v_cmp_ge_u64_e32 vcc, v[0:1], v[42:43]
	s_orn2_b64 vcc, vcc, exec
	s_branch .LBB0_219
.LBB0_224:                              ;   in Loop: Header=BB0_21 Depth=1
	s_or_b64 exec, exec, s[42:43]
	s_and_saveexec_b64 vcc, s[44:45]
	s_xor_b64 vcc, exec, vcc
	s_cbranch_execz .LBB0_226
; %bb.225:                              ;   in Loop: Header=BB0_21 Depth=1
	v_mov_b32_e32 v0, 1
	ds_write_b32 v0, v0
	s_trap 2
.LBB0_226:                              ;   in Loop: Header=BB0_21 Depth=1
	s_or_b64 exec, exec, s[40:41]
	;;#ASMSTART
	s_wakeup
	;;#ASMEND
.LBB0_227:                              ;   in Loop: Header=BB0_21 Depth=1
	s_or_b64 exec, exec, s[38:39]
.LBB0_228:                              ;   in Loop: Header=BB0_21 Depth=1
	s_andn2_saveexec_b64 s[20:21], s[20:21]
	s_cbranch_execz .LBB0_230
; %bb.229:                              ;   in Loop: Header=BB0_21 Depth=1
	s_waitcnt vmcnt(0) lgkmcnt(0)
	buffer_wbinvl1_vol
	s_barrier
.LBB0_230:                              ;   in Loop: Header=BB0_21 Depth=1
	s_or_b64 exec, exec, s[20:21]
.LBB0_231:                              ;   in Loop: Header=BB0_21 Depth=1
	s_or_b64 exec, exec, s[18:19]
	s_and_saveexec_b64 s[18:19], s[14:15]
	s_cbranch_execz .LBB0_20
; %bb.232:                              ;   in Loop: Header=BB0_21 Depth=1
	v_add_co_u32_e32 v38, vcc, 1, v38
	v_accvgpr_read_b32 v0, a16
	v_addc_co_u32_e32 v39, vcc, 0, v39, vcc
	v_accvgpr_read_b32 v1, a17
	flat_store_dwordx2 v[0:1], v[38:39]
	s_branch .LBB0_20
.LBB0_233:
	s_or_b64 exec, exec, s[28:29]
	v_accvgpr_read_b32 v19, a11
	v_accvgpr_read_b32 v27, a13
	;; [unrolled: 1-line block ×6, first 2 shown]
.LBB0_234:
	s_or_b64 exec, exec, s[26:27]
; %bb.235:
	s_and_saveexec_b64 s[6:7], s[24:25]
	s_cbranch_execnz .LBB0_238
; %bb.236:
	s_or_b64 exec, exec, s[6:7]
	s_and_saveexec_b64 s[6:7], s[4:5]
	s_cbranch_execnz .LBB0_239
.LBB0_237:
	s_or_b64 exec, exec, s[6:7]
	v_cmp_ne_u32_e32 vcc, 64, v20
	s_and_saveexec_b64 s[4:5], vcc
	s_cbranch_execnz .LBB0_240
	s_branch .LBB0_257
.LBB0_238:
	s_waitcnt vmcnt(0) lgkmcnt(0)
	flat_store_dwordx2 v[26:27], v[38:39] offset:104
	s_or_b64 exec, exec, s[6:7]
	s_and_saveexec_b64 s[6:7], s[4:5]
	s_cbranch_execz .LBB0_237
.LBB0_239:
	s_waitcnt vmcnt(0) lgkmcnt(0)
	flat_store_dwordx2 v[18:19], v[14:15] offset:104
	s_or_b64 exec, exec, s[6:7]
	v_cmp_ne_u32_e32 vcc, 64, v20
	s_and_saveexec_b64 s[4:5], vcc
	s_cbranch_execz .LBB0_257
.LBB0_240:
	v_cmp_ne_u32_sdwa s[6:7], v11, v20 src0_sel:WORD_0 src1_sel:DWORD
	s_and_saveexec_b64 s[8:9], s[6:7]
	s_xor_b64 s[6:7], exec, s[8:9]
	s_cbranch_execz .LBB0_255
; %bb.241:
	v_and_b32_e32 v0, 63, v31
	v_cmp_eq_u32_e32 vcc, 0, v0
	s_and_saveexec_b64 s[8:9], vcc
	s_cbranch_execz .LBB0_254
; %bb.242:
	s_mov_b64 s[12:13], exec
	v_mbcnt_lo_u32_b32 v0, s12, 0
	v_mbcnt_hi_u32_b32 v0, s13, v0
	v_cmp_eq_u32_e32 vcc, 0, v0
	s_waitcnt vmcnt(0) lgkmcnt(0)
	buffer_wbinvl1_vol
	s_and_saveexec_b64 s[10:11], vcc
	s_cbranch_execz .LBB0_244
; %bb.243:
	s_bcnt1_i32_b64 s12, s[12:13]
	v_mov_b32_e32 v0, s12
	v_mov_b32_e32 v1, 0
	ds_add_u64 v0, v[0:1]
	s_trap 2
.LBB0_244:
	s_or_b64 exec, exec, s[10:11]
	v_ashrrev_i32_e32 v0, 31, v20
	v_lshrrev_b32_e32 v0, 26, v0
	v_add_u32_e32 v0, v20, v0
	v_ashrrev_i32_e32 v0, 6, v0
	s_trap 2
	ds_read_b64 v[2:3], v0
	v_ashrrev_i32_e32 v1, 31, v0
	v_add_co_u32_e32 v0, vcc, v42, v0
	v_addc_co_u32_e32 v1, vcc, v43, v1, vcc
	s_waitcnt lgkmcnt(0)
	v_cmp_lt_u64_e32 vcc, v[2:3], v[0:1]
	s_and_saveexec_b64 s[10:11], vcc
	s_cbranch_execz .LBB0_253
; %bb.245:
	s_mov_b32 s24, 0
	s_mov_b64 s[12:13], 0
                                        ; implicit-def: $sgpr14_sgpr15
                                        ; implicit-def: $sgpr16_sgpr17
	s_branch .LBB0_247
.LBB0_246:                              ;   in Loop: Header=BB0_247 Depth=1
	s_or_b64 exec, exec, s[22:23]
	s_and_b64 s[18:19], exec, s[20:21]
	s_or_b64 s[12:13], s[18:19], s[12:13]
	s_andn2_b64 s[14:15], s[14:15], exec
	s_and_b64 s[18:19], s[16:17], exec
	s_or_b64 s[14:15], s[14:15], s[18:19]
	s_andn2_b64 exec, exec, s[12:13]
	s_cbranch_execz .LBB0_251
.LBB0_247:                              ; =>This Inner Loop Header: Depth=1
	s_add_i32 s24, s24, 1
	s_cmpk_lg_i32 s24, 0x2710
	s_cselect_b64 s[18:19], -1, 0
	s_and_b64 vcc, exec, s[18:19]
                                        ; implicit-def: $sgpr22_sgpr23
	s_cbranch_vccnz .LBB0_249
; %bb.248:                              ;   in Loop: Header=BB0_247 Depth=1
	s_trap 2
	ds_read_b64 v[2:3], v0
	s_andn2_b64 s[18:19], s[18:19], exec
	s_mov_b32 s24, 0
	s_mov_b64 s[22:23], -1
	s_waitcnt lgkmcnt(0)
	flat_load_dword v2, v[2:3] glc
	s_waitcnt vmcnt(0) lgkmcnt(0)
	buffer_invl2
	buffer_wbinvl1_vol
	v_cmp_eq_u32_e32 vcc, 0, v2
	s_and_b64 s[20:21], vcc, exec
	s_or_b64 s[18:19], s[18:19], s[20:21]
.LBB0_249:                              ;   in Loop: Header=BB0_247 Depth=1
	s_andn2_b64 s[16:17], s[16:17], exec
	s_and_b64 s[22:23], s[22:23], exec
	s_mov_b64 s[20:21], -1
	s_or_b64 s[16:17], s[16:17], s[22:23]
	s_and_saveexec_b64 s[22:23], s[18:19]
	s_cbranch_execz .LBB0_246
; %bb.250:                              ;   in Loop: Header=BB0_247 Depth=1
	s_sleep 1
	s_trap 2
	ds_read_b64 v[2:3], v0
	s_andn2_b64 s[16:17], s[16:17], exec
	s_waitcnt lgkmcnt(0)
	v_cmp_ge_u64_e32 vcc, v[2:3], v[0:1]
	s_orn2_b64 s[20:21], vcc, exec
	s_branch .LBB0_246
.LBB0_251:
	s_or_b64 exec, exec, s[12:13]
	s_and_saveexec_b64 s[12:13], s[14:15]
	s_xor_b64 s[12:13], exec, s[12:13]
	s_cbranch_execz .LBB0_253
; %bb.252:
	v_mov_b32_e32 v0, 1
	ds_write_b32 v0, v0
	s_trap 2
.LBB0_253:
	s_or_b64 exec, exec, s[10:11]
	;;#ASMSTART
	s_wakeup
	;;#ASMEND
.LBB0_254:
	s_or_b64 exec, exec, s[8:9]
.LBB0_255:
	s_andn2_saveexec_b64 s[6:7], s[6:7]
	s_cbranch_execz .LBB0_257
; %bb.256:
	s_waitcnt vmcnt(0) lgkmcnt(0)
	buffer_wbinvl1_vol
	s_barrier
.LBB0_257:
	s_or_b64 exec, exec, s[4:5]
	buffer_load_dword a43, off, s[0:3], s32 ; 4-byte Folded Reload
	buffer_load_dword a42, off, s[0:3], s32 offset:4 ; 4-byte Folded Reload
	buffer_load_dword a40, off, s[0:3], s32 offset:8 ; 4-byte Folded Reload
	buffer_load_dword a39, off, s[0:3], s32 offset:12 ; 4-byte Folded Reload
	buffer_load_dword a38, off, s[0:3], s32 offset:16 ; 4-byte Folded Reload
	buffer_load_dword a37, off, s[0:3], s32 offset:20 ; 4-byte Folded Reload
	buffer_load_dword a36, off, s[0:3], s32 offset:24 ; 4-byte Folded Reload
	buffer_load_dword a35, off, s[0:3], s32 offset:28 ; 4-byte Folded Reload
	buffer_load_dword a34, off, s[0:3], s32 offset:32 ; 4-byte Folded Reload
	buffer_load_dword a33, off, s[0:3], s32 offset:36 ; 4-byte Folded Reload
	buffer_load_dword a32, off, s[0:3], s32 offset:40 ; 4-byte Folded Reload
	buffer_load_dword v62, off, s[0:3], s32 offset:44 ; 4-byte Folded Reload
	buffer_load_dword v61, off, s[0:3], s32 offset:48 ; 4-byte Folded Reload
	buffer_load_dword v60, off, s[0:3], s32 offset:52 ; 4-byte Folded Reload
	buffer_load_dword v59, off, s[0:3], s32 offset:56 ; 4-byte Folded Reload
	buffer_load_dword v58, off, s[0:3], s32 offset:60 ; 4-byte Folded Reload
	buffer_load_dword v57, off, s[0:3], s32 offset:64 ; 4-byte Folded Reload
	buffer_load_dword v56, off, s[0:3], s32 offset:68 ; 4-byte Folded Reload
	buffer_load_dword v47, off, s[0:3], s32 offset:72 ; 4-byte Folded Reload
	buffer_load_dword v46, off, s[0:3], s32 offset:76 ; 4-byte Folded Reload
	buffer_load_dword v45, off, s[0:3], s32 offset:80 ; 4-byte Folded Reload
	buffer_load_dword v44, off, s[0:3], s32 offset:84 ; 4-byte Folded Reload
	buffer_load_dword v43, off, s[0:3], s32 offset:88 ; 4-byte Folded Reload
	buffer_load_dword v42, off, s[0:3], s32 offset:92 ; 4-byte Folded Reload
	buffer_load_dword v41, off, s[0:3], s32 offset:96 ; 4-byte Folded Reload
	buffer_load_dword v40, off, s[0:3], s32 offset:100 ; 4-byte Folded Reload
	v_readlane_b32 s30, v63, 27
	v_readlane_b32 s31, v63, 28
	;; [unrolled: 1-line block ×29, first 2 shown]
	s_or_saveexec_b64 s[4:5], -1
	buffer_load_dword v63, off, s[0:3], s32 offset:104 ; 4-byte Folded Reload
	s_mov_b64 exec, s[4:5]
	s_waitcnt vmcnt(0) lgkmcnt(0)
	s_setpc_b64 s[30:31]
.Lfunc_end0:
	.size	_ZN12_GLOBAL__N_17runRingI12hip_bfloat168FuncProdIS1_E7ProtoLLLi0ELi1ELi0EEEviiP15ncclDevWorkColl, .Lfunc_end0-_ZN12_GLOBAL__N_17runRingI12hip_bfloat168FuncProdIS1_E7ProtoLLLi0ELi1ELi0EEEviiP15ncclDevWorkColl
                                        ; -- End function
	.section	.AMDGPU.csdata,"",@progbits
; Function info:
; codeLenInByte = 9268
; NumSgprs: 65
; NumVgprs: 64
; NumAgprs: 44
; TotalNumVgprs: 108
; ScratchSize: 112
; MemoryBound: 0
	.text
	.p2align	2                               ; -- Begin function _Z49ncclDevFunc_ReduceScatter_RING_LL_Prod_bf16_0_0_1v
	.type	_Z49ncclDevFunc_ReduceScatter_RING_LL_Prod_bf16_0_0_1v,@function
_Z49ncclDevFunc_ReduceScatter_RING_LL_Prod_bf16_0_0_1v: ; @_Z49ncclDevFunc_ReduceScatter_RING_LL_Prod_bf16_0_0_1v
; %bb.0:
	s_waitcnt vmcnt(0) expcnt(0) lgkmcnt(0)
	s_mov_b32 s4, s33
	s_mov_b32 s33, s32
	s_or_saveexec_b64 s[6:7], -1
	buffer_store_dword v43, off, s[0:3], s33 offset:16 ; 4-byte Folded Spill
	s_mov_b64 exec, s[6:7]
	v_writelane_b32 v43, s4, 37
	s_addk_i32 s32, 0x800
	buffer_store_dword v40, off, s[0:3], s33 offset:12 ; 4-byte Folded Spill
	buffer_store_dword v41, off, s[0:3], s33 offset:8 ; 4-byte Folded Spill
	;; [unrolled: 1-line block ×3, first 2 shown]
	buffer_store_dword v63, off, s[0:3], s33 ; 4-byte Folded Spill
	v_writelane_b32 v43, s34, 0
	v_writelane_b32 v43, s35, 1
	;; [unrolled: 1-line block ×37, first 2 shown]
	s_trap 2
	ds_read_b32 v0, v0
	v_mov_b32_e32 v40, v31
	s_mov_b32 s61, s12
	s_mov_b64 s[62:63], s[8:9]
	s_waitcnt lgkmcnt(0)
	v_cmp_gt_i32_e32 vcc, 1, v0
	s_cbranch_vccnz .LBB1_8
; %bb.1:
	s_mov_b32 s68, 0
	v_and_b32_e32 v41, 0x3ff, v40
	s_mov_b64 s[64:65], src_shared_base
	v_mov_b32_e32 v42, 6
	s_branch .LBB1_3
.LBB1_2:                                ;   in Loop: Header=BB1_3 Depth=1
	s_or_b64 exec, exec, s[66:67]
	s_trap 2
	ds_read_b32 v0, v0
	s_add_i32 s68, s68, 1
	s_waitcnt lgkmcnt(0)
	v_cmp_lt_i32_e32 vcc, s68, v0
	s_cbranch_vccz .LBB1_8
.LBB1_3:                                ; =>This Inner Loop Header: Depth=1
	s_trap 2
	ds_read_b32 v0, v0
	s_cmp_eq_u32 s68, 0
	s_cbranch_scc1 .LBB1_6
; %bb.4:                                ;   in Loop: Header=BB1_3 Depth=1
	s_trap 2
	s_waitcnt lgkmcnt(0)
	ds_read_b32 v1, v0
	s_waitcnt lgkmcnt(0)
	v_xor_b32_e32 v1, v1, v0
	v_and_b32_e32 v1, 0xff0000, v1
	v_cmp_eq_u32_e32 vcc, 0, v1
	s_cbranch_vccnz .LBB1_6
; %bb.5:                                ;   in Loop: Header=BB1_3 Depth=1
	s_barrier
	ds_read_b32 v0, v0
.LBB1_6:                                ;   in Loop: Header=BB1_3 Depth=1
	s_waitcnt lgkmcnt(0)
	v_lshlrev_b32_sdwa v1, v42, v0 dst_sel:DWORD dst_unused:UNUSED_PAD src0_sel:DWORD src1_sel:BYTE_2
	v_cmp_lt_u32_e32 vcc, v41, v1
	s_and_saveexec_b64 s[66:67], vcc
	s_cbranch_execz .LBB1_2
; %bb.7:                                ;   in Loop: Header=BB1_3 Depth=1
	s_mov_b64 s[8:9], s[62:63]
	s_mov_b32 s12, s61
	v_mov_b32_e32 v31, v40
	v_mov_b32_e32 v0, v41
	;; [unrolled: 1-line block ×3, first 2 shown]
	s_getpc_b64 s[4:5]
	s_add_u32 s4, s4, _ZN12_GLOBAL__N_17runRingI12hip_bfloat168FuncProdIS1_E7ProtoLLLi0ELi1ELi0EEEviiP15ncclDevWorkColl@rel32@lo+4
	s_addc_u32 s5, s5, _ZN12_GLOBAL__N_17runRingI12hip_bfloat168FuncProdIS1_E7ProtoLLLi0ELi1ELi0EEEviiP15ncclDevWorkColl@rel32@hi+12
	s_swappc_b64 s[30:31], s[4:5]
	s_branch .LBB1_2
.LBB1_8:
	buffer_load_dword v63, off, s[0:3], s33 ; 4-byte Folded Reload
	buffer_load_dword v42, off, s[0:3], s33 offset:4 ; 4-byte Folded Reload
	buffer_load_dword v41, off, s[0:3], s33 offset:8 ; 4-byte Folded Reload
	;; [unrolled: 1-line block ×3, first 2 shown]
	v_readlane_b32 s30, v43, 35
	v_readlane_b32 s31, v43, 36
	;; [unrolled: 1-line block ×38, first 2 shown]
	s_or_saveexec_b64 s[6:7], -1
	buffer_load_dword v43, off, s[0:3], s33 offset:16 ; 4-byte Folded Reload
	s_mov_b64 exec, s[6:7]
	s_addk_i32 s32, 0xf800
	s_mov_b32 s33, s4
	s_waitcnt vmcnt(0)
	s_setpc_b64 s[30:31]
.Lfunc_end1:
	.size	_Z49ncclDevFunc_ReduceScatter_RING_LL_Prod_bf16_0_0_1v, .Lfunc_end1-_Z49ncclDevFunc_ReduceScatter_RING_LL_Prod_bf16_0_0_1v
                                        ; -- End function
	.section	.AMDGPU.csdata,"",@progbits
; Function info:
; codeLenInByte = 972
; NumSgprs: 73
; NumVgprs: 64
; NumAgprs: 44
; TotalNumVgprs: 108
; ScratchSize: 144
; MemoryBound: 0
	.text
	.p2align	2                               ; -- Begin function _ZN12_GLOBAL__N_17runRingI12hip_bfloat168FuncProdIS1_E7ProtoLLLi0ELi2ELi0EEEviiP15ncclDevWorkColl
	.type	_ZN12_GLOBAL__N_17runRingI12hip_bfloat168FuncProdIS1_E7ProtoLLLi0ELi2ELi0EEEviiP15ncclDevWorkColl,@function
_ZN12_GLOBAL__N_17runRingI12hip_bfloat168FuncProdIS1_E7ProtoLLLi0ELi2ELi0EEEviiP15ncclDevWorkColl: ; @_ZN12_GLOBAL__N_17runRingI12hip_bfloat168FuncProdIS1_E7ProtoLLLi0ELi2ELi0EEEviiP15ncclDevWorkColl
; %bb.0:
	s_waitcnt vmcnt(0) expcnt(0) lgkmcnt(0)
	s_or_saveexec_b64 s[4:5], -1
	buffer_store_dword v63, off, s[0:3], s32 offset:104 ; 4-byte Folded Spill
	s_mov_b64 exec, s[4:5]
	buffer_store_dword v40, off, s[0:3], s32 offset:100 ; 4-byte Folded Spill
	buffer_store_dword v41, off, s[0:3], s32 offset:96 ; 4-byte Folded Spill
	;; [unrolled: 1-line block ×25, first 2 shown]
	buffer_store_dword a43, off, s[0:3], s32 ; 4-byte Folded Spill
	v_writelane_b32 v63, s34, 0
	v_writelane_b32 v63, s35, 1
	;; [unrolled: 1-line block ×29, first 2 shown]
	s_trap 2
	flat_load_dword v7, v[2:3]
	flat_load_dwordx4 v[12:15], v[2:3] offset:72
	flat_load_dwordx2 v[8:9], v[2:3] offset:88
	ds_read_b32 v5, v0
	ds_read_b64 v[22:23], v0
	v_mov_b32_e32 v24, v0
	v_mov_b32_e32 v20, v1
                                        ; implicit-def: $agpr4_agpr5
	s_waitcnt lgkmcnt(0)
	v_readfirstlane_b32 s22, v5
	s_waitcnt vmcnt(0)
	v_not_b32_sdwa v6, v7 dst_sel:DWORD dst_unused:UNUSED_PAD src0_sel:BYTE_0
	v_add_u32_sdwa v0, v7, v6 dst_sel:DWORD dst_unused:UNUSED_PAD src0_sel:BYTE_1 src1_sel:DWORD
	v_ashrrev_i32_e32 v1, 31, v0
	v_mul_lo_u32 v4, v15, v0
	v_mad_u64_u32 v[10:11], s[4:5], v14, v0, 0
	v_accvgpr_write_b32 a0, v12
	v_mul_lo_u32 v0, v14, v1
	v_accvgpr_write_b32 a1, v13
	v_accvgpr_write_b32 a2, v14
	v_accvgpr_write_b32 a3, v15
	v_add3_u32 v4, v11, v0, v4
	v_cmp_ne_u32_sdwa s[4:5], v7, v5 src0_sel:BYTE_0 src1_sel:DWORD
                                        ; implicit-def: $vgpr0_vgpr1
	s_and_saveexec_b64 s[6:7], s[4:5]
	s_xor_b64 s[4:5], exec, s[6:7]
	s_cbranch_execz .LBB2_6
; %bb.1:
	v_cmp_ne_u32_sdwa s[6:7], v7, v5 src0_sel:BYTE_1 src1_sel:DWORD
                                        ; implicit-def: $vgpr0_vgpr1
                                        ; implicit-def: $agpr4_agpr5
	s_and_saveexec_b64 s[10:11], s[6:7]
	s_xor_b64 s[6:7], exec, s[10:11]
	s_cbranch_execz .LBB2_3
; %bb.2:
	flat_load_dwordx2 v[0:1], v[2:3] offset:96
	v_add_u32_e32 v5, v5, v6
	v_accvgpr_read_b32 v15, a3
	v_ashrrev_i32_e32 v6, 31, v5
	v_accvgpr_read_b32 v14, a2
	v_accvgpr_read_b32 v13, a1
	;; [unrolled: 1-line block ×3, first 2 shown]
	v_mul_lo_u32 v6, v14, v6
	v_mul_lo_u32 v7, v15, v5
	v_mad_u64_u32 v[12:13], s[10:11], v14, v5, v[12:13]
	v_add3_u32 v13, v7, v13, v6
	v_accvgpr_write_b32 a4, v12
	v_accvgpr_write_b32 a5, v13
	s_waitcnt vmcnt(0) lgkmcnt(0)
	v_lshrrev_b64 v[0:1], 18, v[0:1]
.LBB2_3:
	s_andn2_saveexec_b64 s[6:7], s[6:7]
	s_cbranch_execz .LBB2_5
; %bb.4:
	flat_load_dword v0, v[2:3] offset:100
	v_accvgpr_read_b32 v13, a1
	v_accvgpr_read_b32 v12, a0
	v_add_co_u32_e32 v6, vcc, v10, v12
	v_addc_co_u32_e32 v7, vcc, v4, v13, vcc
	v_accvgpr_write_b32 a4, v6
	v_pk_mov_b32 v[14:15], v[8:9], v[8:9] op_sel:[0,1]
	v_accvgpr_write_b32 a0, v12
	v_accvgpr_write_b32 a5, v7
	;; [unrolled: 1-line block ×5, first 2 shown]
	s_waitcnt vmcnt(0) lgkmcnt(0)
	v_lshrrev_b32_e32 v0, 7, v0
.LBB2_5:
	s_or_b64 exec, exec, s[6:7]
.LBB2_6:
	s_andn2_saveexec_b64 s[4:5], s[4:5]
	s_cbranch_execz .LBB2_8
; %bb.7:
	flat_load_dwordx2 v[0:1], v[2:3] offset:96
	v_pk_mov_b32 v[6:7], 0, 0
	v_accvgpr_write_b32 a4, v6
	v_accvgpr_mov_b32 a3, a1
	v_accvgpr_write_b32 a5, v7
	v_accvgpr_mov_b32 a2, a0
	s_waitcnt vmcnt(0) lgkmcnt(0)
	v_lshlrev_b64 v[0:1], 3, v[0:1]
.LBB2_8:
	s_or_b64 exec, exec, s[4:5]
	flat_load_ushort v7, v[2:3] offset:8
	flat_load_dword v6, v[2:3] offset:4
	s_load_dword s4, s[8:9], 0x0
	flat_load_dwordx4 a[6:9], v[2:3] offset:16
	v_mov_b32_e32 v3, 0
	v_ashrrev_i32_e32 v25, 31, v24
	v_lshrrev_b32_e32 v1, 26, v25
	s_waitcnt lgkmcnt(0)
	s_cmp_lt_u32 s12, s4
	s_cselect_b32 s4, 12, 18
	s_add_u32 s4, s8, s4
	s_addc_u32 s5, s9, 0
	global_load_ushort v11, v3, s[4:5]
	s_trap 2
	ds_read_b32 v2, v0
	v_add_u32_e32 v1, v24, v1
	v_and_b32_e32 v1, 0xffffffc0, v1
	v_sub_u32_e32 v1, v24, v1
	s_mov_b32 s6, 0
	s_waitcnt lgkmcnt(0)
	v_cmp_gt_i32_e32 vcc, 0, v2
	v_readfirstlane_b32 s8, v2
	s_and_b64 vcc, exec, vcc
	v_pk_mov_b32 v[18:19], 0, 0
	v_cmp_eq_u32_e64 s[4:5], 0, v1
	s_waitcnt vmcnt(0)
	v_lshrrev_b64 v[6:7], 31, v[6:7]
	v_and_b32_e32 v5, 3, v6
	s_cbranch_vccnz .LBB2_10
; %bb.9:
	s_trap 2
	ds_read_b64 v[6:7], v0
	v_lshlrev_b64 v[2:3], 3, v[2:3]
	s_movk_i32 s6, 0xa8
	s_waitcnt lgkmcnt(0)
	v_add_co_u32_e32 v2, vcc, v6, v2
	v_addc_co_u32_e32 v3, vcc, v7, v3, vcc
	flat_load_dwordx2 v[2:3], v[2:3]
	v_and_b32_e32 v6, 0xffff, v5
	s_waitcnt vmcnt(0) lgkmcnt(0)
	v_mad_u64_u32 v[2:3], s[6:7], v6, s6, v[2:3]
	flat_load_dwordx2 a[14:15], v[2:3] offset:504
	flat_load_dwordx2 v[34:35], v[2:3] offset:608
	v_add_co_u32_e32 v2, vcc, 0x1f8, v2
	v_addc_co_u32_e32 v3, vcc, 0, v3, vcc
	v_cndmask_b32_e64 v27, 0, v3, s[4:5]
	v_cndmask_b32_e64 v26, 0, v2, s[4:5]
	s_mov_b32 s6, 1
	s_branch .LBB2_11
.LBB2_10:
	v_pk_mov_b32 v[26:27], v[18:19], v[18:19] op_sel:[0,1]
                                        ; implicit-def: $vgpr34_vgpr35
                                        ; implicit-def: $agpr14_agpr15
.LBB2_11:
	s_trap 2
	ds_read_b32 v2, v0
	s_waitcnt lgkmcnt(0)
	v_cmp_gt_i32_e32 vcc, 0, v2
	s_cbranch_vccnz .LBB2_13
; %bb.12:
	s_trap 2
	ds_read_b64 v[6:7], v0
	v_mov_b32_e32 v3, 0
	v_lshlrev_b64 v[2:3], 3, v[2:3]
	v_and_b32_e32 v5, 0xffff, v5
	s_movk_i32 s4, 0xa8
	s_waitcnt lgkmcnt(0)
	v_add_co_u32_e32 v2, vcc, v6, v2
	v_addc_co_u32_e32 v3, vcc, v7, v3, vcc
	flat_load_dwordx2 v[2:3], v[2:3]
	v_cmp_eq_u32_e32 vcc, 0, v1
	s_waitcnt vmcnt(0) lgkmcnt(0)
	v_mad_u64_u32 v[2:3], s[4:5], v5, s4, v[2:3]
	flat_load_dwordx2 v[36:37], v[2:3]
	flat_load_dwordx2 v[16:17], v[2:3] offset:104
	v_cndmask_b32_e32 v19, 0, v3, vcc
	v_cndmask_b32_e32 v18, 0, v2, vcc
	s_branch .LBB2_14
.LBB2_13:
                                        ; implicit-def: $vgpr16_vgpr17
                                        ; implicit-def: $vgpr36_vgpr37
.LBB2_14:
	v_subrev_u32_e32 v2, 64, v20
	v_pk_mov_b32 v[12:13], 0, 0
	v_cmp_le_i32_e32 vcc, v2, v24
	v_cmp_gt_i32_e64 s[4:5], s6, v1
	v_accvgpr_write_b32 a17, v13
	s_and_b64 s[24:25], vcc, s[4:5]
	v_accvgpr_write_b32 a16, v12
                                        ; implicit-def: $vgpr38_vgpr39
	s_and_saveexec_b64 s[4:5], s[24:25]
	s_cbranch_execz .LBB2_16
; %bb.15:
	flat_load_dwordx2 a[16:17], v[26:27] offset:56
	flat_load_dwordx2 v[38:39], v[26:27] offset:104
.LBB2_16:
	s_or_b64 exec, exec, s[4:5]
	v_cmp_gt_i32_e64 s[4:5], s6, v24
	v_pk_mov_b32 v[50:51], v[12:13], v[12:13] op_sel:[0,1]
                                        ; implicit-def: $vgpr52_vgpr53
	s_and_saveexec_b64 s[6:7], s[4:5]
	s_cbranch_execz .LBB2_18
; %bb.17:
	flat_load_dwordx2 v[50:51], v[18:19] offset:56
	s_waitcnt vmcnt(0) lgkmcnt(0)
	flat_load_dwordx2 v[52:53], v[50:51] glc
	s_waitcnt vmcnt(0)
	flat_load_dwordx4 v[12:15], v[18:19] offset:96
.LBB2_18:
	s_or_b64 exec, exec, s[6:7]
	v_accvgpr_read_b32 v47, a3
	v_accvgpr_read_b32 v46, a2
	;; [unrolled: 1-line block ×4, first 2 shown]
	v_cmp_ne_u64_e32 vcc, 0, v[46:47]
	v_pk_mov_b32 v[42:43], 0, 0
	s_and_saveexec_b64 s[26:27], vcc
	s_cbranch_execz .LBB2_234
; %bb.19:
	v_add_co_u32_e32 v1, vcc, v8, v44
	s_ashr_i32 s6, s8, 31
	v_addc_co_u32_e32 v2, vcc, v9, v45, vcc
	s_lshr_b32 s6, s6, 29
	v_add_co_u32_e32 v44, vcc, v1, v10
	s_ashr_i32 s23, s22, 31
	s_add_i32 s8, s8, s6
	v_addc_co_u32_e32 v45, vcc, v2, v4, vcc
	s_lshl_b64 s[6:7], s[22:23], 2
	v_mov_b32_e32 v1, s7
	v_add_co_u32_e32 v2, vcc, s6, v22
	v_addc_co_u32_e32 v1, vcc, v23, v1, vcc
	v_add_co_u32_e32 v2, vcc, -4, v2
	v_addc_co_u32_e32 v3, vcc, -1, v1, vcc
	v_mov_b32_e32 v41, 0
	v_accvgpr_write_b32 a19, v3
	v_and_b32_e32 v6, 0xfffff8, v0
	v_mov_b32_e32 v7, v41
	v_accvgpr_write_b32 a18, v2
	v_and_b32_e32 v1, 63, v31
	v_ashrrev_i32_e32 v21, 31, v20
	v_lshlrev_b32_e32 v2, 2, v24
	v_accvgpr_write_b32 a10, v18
	v_pk_mov_b32 v[8:9], v[6:7], v[6:7] op_sel:[0,1]
	v_cmp_eq_u32_e64 s[12:13], 0, v1
	v_lshrrev_b32_e32 v1, 26, v21
	v_ashrrev_i32_e32 v3, 31, v2
	v_accvgpr_read_b32 v4, a6
	v_accvgpr_write_b32 a11, v19
	v_add_u32_e32 v1, v20, v1
	v_lshlrev_b64 v[18:19], 1, v[2:3]
	v_accvgpr_read_b32 v6, a8
	v_ashrrev_i32_e32 v10, 6, v1
	v_accvgpr_write_b32 a22, v2
	v_accvgpr_read_b32 v7, a9
	v_add_co_u32_e32 v1, vcc, v6, v18
	s_waitcnt vmcnt(0) lgkmcnt(0)
	v_accvgpr_read_b32 v2, a16
	v_addc_co_u32_e32 v7, vcc, v7, v19, vcc
	v_accvgpr_read_b32 v3, a17
	v_accvgpr_read_b32 v5, a7
	v_cmp_ne_u64_e64 s[14:15], 0, v[2:3]
	v_add_co_u32_e32 v2, vcc, v4, v18
	v_accvgpr_write_b32 a26, v2
	v_addc_co_u32_e32 v2, vcc, v5, v19, vcc
	v_and_b32_e32 v40, 1, v4
	v_accvgpr_read_b32 v4, a4
	v_accvgpr_read_b32 v5, a5
	v_accvgpr_write_b32 a27, v2
	v_lshlrev_b64 v[2:3], 1, v[4:5]
	v_add_co_u32_e32 v2, vcc, v1, v2
	v_addc_co_u32_e32 v3, vcc, v7, v3, vcc
	v_accvgpr_write_b32 a21, v1
	v_accvgpr_write_b32 a29, v3
	v_lshlrev_b32_e32 v1, 1, v0
	v_accvgpr_write_b32 a28, v2
	v_and_b32_e32 v2, 0x1fffff0, v1
	v_lshlrev_b32_e32 v1, 1, v4
	v_lshlrev_b32_e32 v0, 4, v0
	v_accvgpr_write_b32 a0, v31
	v_lshl_add_u32 v1, v24, 3, v1
	v_and_b32_e32 v31, 0xfffff80, v0
	v_lshlrev_b32_e32 v0, 4, v44
	v_accvgpr_write_b32 a30, v2
	v_add_lshl_u32 v2, v1, v6, 3
	v_accvgpr_write_b32 a33, v0
	v_lshlrev_b64 v[0:1], 4, v[24:25]
	v_add_co_u32_e32 v0, vcc, v36, v0
	s_ashr_i32 s10, s8, 3
	v_accvgpr_write_b32 a35, v0
	v_addc_co_u32_e32 v0, vcc, v37, v1, vcc
	v_ashrrev_i32_e32 v1, 31, v10
	s_ashr_i32 s54, s8, 7
	s_and_b32 s23, s10, -16
	v_lshlrev_b32_e32 v58, 2, v20
	v_accvgpr_write_b32 a36, v0
	v_accvgpr_write_b32 a37, v1
	v_lshlrev_b64 v[0:1], 1, v[44:45]
	v_accvgpr_write_b32 a12, v26
	v_ashrrev_i32_e32 v59, 31, v58
	s_cmp_gt_i32 s22, 2
	v_accvgpr_write_b32 a25, v19
	v_accvgpr_write_b32 a39, v1
	v_pk_mov_b32 v[28:29], 0, 0
	v_accvgpr_write_b32 a13, v27
	s_mov_b64 s[28:29], 0
	v_cmp_ne_u64_e64 s[6:7], 0, v[50:51]
	v_cmp_ne_u64_e64 s[8:9], 0, v[12:13]
	v_cmp_ne_u32_e64 s[10:11], 64, v20
	v_accvgpr_write_b32 a1, v11
	v_cmp_ne_u32_sdwa s[30:31], v11, v20 src0_sel:WORD_0 src1_sel:DWORD
	s_cselect_b64 s[34:35], -1, 0
	v_accvgpr_write_b32 a24, v18
	v_cmp_eq_u64_e64 s[16:17], 0, v[40:41]
	v_accvgpr_write_b32 a23, v7
	v_accvgpr_write_b32 a32, v2
	v_lshlrev_b32_e32 v32, 6, v20
	s_movk_i32 s55, 0x2710
	s_mov_b64 s[36:37], 0x7ffffff8
	s_mov_b32 s56, 0x7f800000
	s_movk_i32 s57, 0x7fff
	s_mov_b32 s58, 0xffff0000
	v_mov_b32_e32 v62, 0
	v_accvgpr_write_b32 a20, v10
	v_accvgpr_write_b32 a38, v0
	v_lshlrev_b64 v[56:57], 1, v[58:59]
	v_lshlrev_b64 v[60:61], 4, v[20:21]
	v_pk_mov_b32 v[42:43], v[28:29], v[28:29] op_sel:[0,1]
	v_pk_mov_b32 v[4:5], v[46:47], v[46:47] op_sel:[0,1]
	s_branch .LBB2_21
.LBB2_20:                               ;   in Loop: Header=BB2_21 Depth=1
	s_or_b64 exec, exec, s[18:19]
	v_add_co_u32_e32 v34, vcc, 1, v34
	v_addc_co_u32_e32 v35, vcc, 0, v35, vcc
	v_add_co_u32_e32 v28, vcc, v28, v8
	v_addc_co_u32_e32 v29, vcc, 0, v29, vcc
	v_accvgpr_read_b32 v0, a28
	s_waitcnt vmcnt(0) lgkmcnt(0)
	v_accvgpr_read_b32 v2, a30
	v_accvgpr_read_b32 v1, a29
	v_add_co_u32_e32 v0, vcc, v0, v2
	v_addc_co_u32_e32 v1, vcc, 0, v1, vcc
	v_accvgpr_write_b32 a29, v1
	v_accvgpr_write_b32 a28, v0
	v_accvgpr_read_b32 v0, a32
	v_cmp_ge_u64_e32 vcc, v[28:29], v[4:5]
	v_add_u32_e32 v0, v0, v31
	s_or_b64 s[28:29], vcc, s[28:29]
	v_accvgpr_write_b32 a32, v0
	s_andn2_b64 exec, exec, s[28:29]
	s_cbranch_execz .LBB2_233
.LBB2_21:                               ; =>This Loop Header: Depth=1
                                        ;     Child Loop BB2_28 Depth 2
                                        ;     Child Loop BB2_45 Depth 2
	;; [unrolled: 1-line block ×5, first 2 shown]
                                        ;       Child Loop BB2_85 Depth 3
                                        ;       Child Loop BB2_101 Depth 3
	;; [unrolled: 1-line block ×3, first 2 shown]
                                        ;         Child Loop BB2_122 Depth 4
                                        ;       Child Loop BB2_154 Depth 3
                                        ;       Child Loop BB2_78 Depth 3
                                        ;     Child Loop BB2_169 Depth 2
                                        ;       Child Loop BB2_177 Depth 3
                                        ;     Child Loop BB2_220 Depth 2
	v_accvgpr_read_b32 v0, a18
	v_accvgpr_read_b32 v1, a19
	flat_load_dword v2, v[0:1]
	v_sub_co_u32_e32 v0, vcc, v4, v28
	v_subb_co_u32_e32 v1, vcc, v5, v29, vcc
	v_cmp_lt_u64_e32 vcc, v[8:9], v[0:1]
	v_cndmask_b32_e32 v3, v0, v8, vcc
	v_lshl_add_u32 v0, v3, 2, 12
	v_and_b32_e32 v0, 0x7fffff0, v0
	v_accvgpr_write_b32 a40, v0
	s_and_saveexec_b64 s[18:19], s[6:7]
	s_cbranch_execz .LBB2_37
; %bb.22:                               ;   in Loop: Header=BB2_21 Depth=1
	v_add_co_u32_e32 v0, vcc, 1, v14
	v_addc_co_u32_e32 v1, vcc, 0, v15, vcc
	v_add_co_u32_e32 v4, vcc, 8, v52
	v_addc_co_u32_e32 v5, vcc, 0, v53, vcc
	v_cmp_lt_u64_e32 vcc, v[4:5], v[0:1]
	s_and_saveexec_b64 s[20:21], vcc
	s_cbranch_execz .LBB2_34
; %bb.23:                               ;   in Loop: Header=BB2_21 Depth=1
	s_sleep 1
	flat_load_dwordx2 v[52:53], v[50:51] glc
	v_cmp_eq_u32_e32 vcc, 0, v62
	s_and_saveexec_b64 s[38:39], vcc
	s_cbranch_execz .LBB2_33
; %bb.24:                               ;   in Loop: Header=BB2_21 Depth=1
	v_cndmask_b32_e64 v4, 0, 1, vcc
	s_mov_b64 s[40:41], 0
                                        ; implicit-def: $sgpr42_sgpr43
	s_branch .LBB2_28
.LBB2_25:                               ;   in Loop: Header=BB2_28 Depth=2
	s_or_b64 exec, exec, s[50:51]
	s_orn2_b64 s[48:49], s[48:49], exec
.LBB2_26:                               ;   in Loop: Header=BB2_28 Depth=2
	s_or_b64 exec, exec, s[46:47]
	s_xor_b64 vcc, s[48:49], -1
	s_andn2_b64 s[42:43], s[42:43], exec
	s_and_b64 vcc, vcc, exec
	s_or_b64 s[42:43], s[42:43], vcc
.LBB2_27:                               ;   in Loop: Header=BB2_28 Depth=2
	s_or_b64 exec, exec, s[44:45]
	s_and_b64 vcc, exec, s[42:43]
	s_or_b64 s[40:41], vcc, s[40:41]
	s_andn2_b64 exec, exec, s[40:41]
	s_cbranch_execz .LBB2_32
.LBB2_28:                               ;   Parent Loop BB2_21 Depth=1
                                        ; =>  This Inner Loop Header: Depth=2
	s_waitcnt vmcnt(0) lgkmcnt(0)
	v_add_co_u32_e32 v6, vcc, 8, v52
	v_addc_co_u32_e32 v7, vcc, 0, v53, vcc
	v_cmp_lt_u64_e32 vcc, v[6:7], v[0:1]
	v_mov_b32_e32 v62, 0
	s_or_b64 s[42:43], s[42:43], exec
	s_and_saveexec_b64 s[44:45], vcc
	s_cbranch_execz .LBB2_27
; %bb.29:                               ;   in Loop: Header=BB2_28 Depth=2
	s_sleep 1
	flat_load_dwordx2 v[52:53], v[50:51] glc
	v_add_u32_e32 v4, 1, v4
	v_cmp_eq_u32_e32 vcc, s55, v4
	s_mov_b64 s[48:49], -1
	v_mov_b32_e32 v62, 0
	s_and_saveexec_b64 s[46:47], vcc
	s_cbranch_execz .LBB2_26
; %bb.30:                               ;   in Loop: Header=BB2_28 Depth=2
	s_trap 2
	ds_read_b64 v[4:5], v0
	v_mov_b32_e32 v62, 0
	s_waitcnt vmcnt(0) lgkmcnt(0)
	flat_load_dword v5, v[4:5] glc
	s_waitcnt vmcnt(0) lgkmcnt(0)
	buffer_invl2
	buffer_wbinvl1_vol
	v_mov_b32_e32 v4, 0
	v_cmp_ne_u32_e32 vcc, 0, v5
	s_and_saveexec_b64 s[50:51], vcc
	s_cbranch_execz .LBB2_25
; %bb.31:                               ;   in Loop: Header=BB2_28 Depth=2
	v_mov_b32_e32 v62, 1
	s_xor_b64 s[48:49], exec, -1
	ds_write_b32 v0, v5
	s_trap 2
	s_branch .LBB2_25
.LBB2_32:                               ;   in Loop: Header=BB2_21 Depth=1
	s_or_b64 exec, exec, s[40:41]
.LBB2_33:                               ;   in Loop: Header=BB2_21 Depth=1
	s_or_b64 exec, exec, s[38:39]
.LBB2_34:                               ;   in Loop: Header=BB2_21 Depth=1
	s_or_b64 exec, exec, s[20:21]
	s_and_saveexec_b64 s[20:21], s[8:9]
	s_cbranch_execz .LBB2_36
; %bb.35:                               ;   in Loop: Header=BB2_21 Depth=1
	v_and_b32_e32 v40, 0x7ffffff8, v14
	v_mov_b32_e32 v4, s23
	v_cmp_eq_u64_e32 vcc, s[36:37], v[40:41]
	v_accvgpr_read_b32 v5, a40
	v_cndmask_b32_e32 v4, v5, v4, vcc
	v_and_b32_e32 v6, 7, v14
	v_ashrrev_i32_e32 v5, 31, v4
	v_mad_u64_u32 v[6:7], vcc, v6, 24, v[12:13]
	flat_store_dwordx2 v[6:7], v[4:5] offset:8
	s_waitcnt vmcnt(0)
.LBB2_36:                               ;   in Loop: Header=BB2_21 Depth=1
	s_or_b64 exec, exec, s[20:21]
	v_pk_mov_b32 v[14:15], v[0:1], v[0:1] op_sel:[0,1]
.LBB2_37:                               ;   in Loop: Header=BB2_21 Depth=1
	s_or_b64 exec, exec, s[18:19]
	s_and_saveexec_b64 s[18:19], s[10:11]
	s_cbranch_execz .LBB2_56
; %bb.38:                               ;   in Loop: Header=BB2_21 Depth=1
	s_and_saveexec_b64 s[20:21], s[30:31]
	s_xor_b64 s[20:21], exec, s[20:21]
	s_cbranch_execz .LBB2_53
; %bb.39:                               ;   in Loop: Header=BB2_21 Depth=1
	s_and_saveexec_b64 s[38:39], s[12:13]
	s_cbranch_execz .LBB2_52
; %bb.40:                               ;   in Loop: Header=BB2_21 Depth=1
	s_mov_b64 s[42:43], exec
	v_mbcnt_lo_u32_b32 v0, s42, 0
	v_mbcnt_hi_u32_b32 v0, s43, v0
	v_cmp_eq_u32_e32 vcc, 0, v0
	s_waitcnt vmcnt(0) lgkmcnt(0)
	buffer_wbinvl1_vol
	s_and_saveexec_b64 s[40:41], vcc
	s_cbranch_execz .LBB2_42
; %bb.41:                               ;   in Loop: Header=BB2_21 Depth=1
	s_bcnt1_i32_b64 vcc_lo, s[42:43]
	v_mov_b32_e32 v40, vcc_lo
	ds_add_u64 v0, v[40:41]
	s_trap 2
.LBB2_42:                               ;   in Loop: Header=BB2_21 Depth=1
	s_or_b64 exec, exec, s[40:41]
	s_trap 2
	ds_read_b64 v[0:1], v0
	v_accvgpr_read_b32 v4, a20
	v_add_co_u32_e32 v42, vcc, v42, v4
	v_accvgpr_read_b32 v5, a37
	v_addc_co_u32_e32 v43, vcc, v43, v5, vcc
	s_waitcnt lgkmcnt(0)
	v_cmp_lt_u64_e32 vcc, v[0:1], v[42:43]
	s_and_saveexec_b64 s[40:41], vcc
	s_cbranch_execz .LBB2_51
; %bb.43:                               ;   in Loop: Header=BB2_21 Depth=1
	s_mov_b32 s52, 0
	s_mov_b64 s[42:43], 0
                                        ; implicit-def: $sgpr44_sgpr45
                                        ; implicit-def: $sgpr46_sgpr47
	s_branch .LBB2_45
.LBB2_44:                               ;   in Loop: Header=BB2_45 Depth=2
	s_or_b64 exec, exec, s[50:51]
	s_and_b64 vcc, exec, vcc
	s_or_b64 s[42:43], vcc, s[42:43]
	s_andn2_b64 vcc, s[44:45], exec
	s_and_b64 s[44:45], s[46:47], exec
	s_or_b64 s[44:45], vcc, s[44:45]
	s_andn2_b64 exec, exec, s[42:43]
	s_cbranch_execz .LBB2_49
.LBB2_45:                               ;   Parent Loop BB2_21 Depth=1
                                        ; =>  This Inner Loop Header: Depth=2
	s_add_i32 s52, s52, 1
	s_cmpk_lg_i32 s52, 0x2710
	s_cselect_b64 s[48:49], -1, 0
	s_and_b64 vcc, exec, s[48:49]
                                        ; implicit-def: $sgpr50_sgpr51
	s_cbranch_vccnz .LBB2_47
; %bb.46:                               ;   in Loop: Header=BB2_45 Depth=2
	s_trap 2
	ds_read_b64 v[0:1], v0
	s_andn2_b64 s[48:49], s[48:49], exec
	s_mov_b32 s52, 0
	s_mov_b64 s[50:51], -1
	s_waitcnt lgkmcnt(0)
	flat_load_dword v0, v[0:1] glc
	s_waitcnt vmcnt(0) lgkmcnt(0)
	buffer_invl2
	buffer_wbinvl1_vol
	v_cmp_eq_u32_e32 vcc, 0, v0
	s_and_b64 vcc, vcc, exec
	s_or_b64 s[48:49], s[48:49], vcc
.LBB2_47:                               ;   in Loop: Header=BB2_45 Depth=2
	s_andn2_b64 s[46:47], s[46:47], exec
	s_and_b64 s[50:51], s[50:51], exec
	s_mov_b64 vcc, -1
	s_or_b64 s[46:47], s[46:47], s[50:51]
	s_and_saveexec_b64 s[50:51], s[48:49]
	s_cbranch_execz .LBB2_44
; %bb.48:                               ;   in Loop: Header=BB2_45 Depth=2
	s_sleep 1
	s_trap 2
	ds_read_b64 v[0:1], v0
	s_andn2_b64 s[46:47], s[46:47], exec
	s_waitcnt lgkmcnt(0)
	v_cmp_ge_u64_e32 vcc, v[0:1], v[42:43]
	s_orn2_b64 vcc, vcc, exec
	s_branch .LBB2_44
.LBB2_49:                               ;   in Loop: Header=BB2_21 Depth=1
	s_or_b64 exec, exec, s[42:43]
	s_and_saveexec_b64 vcc, s[44:45]
	s_xor_b64 vcc, exec, vcc
	s_cbranch_execz .LBB2_51
; %bb.50:                               ;   in Loop: Header=BB2_21 Depth=1
	v_mov_b32_e32 v0, 1
	ds_write_b32 v0, v0
	s_trap 2
.LBB2_51:                               ;   in Loop: Header=BB2_21 Depth=1
	s_or_b64 exec, exec, s[40:41]
	;;#ASMSTART
	s_wakeup
	;;#ASMEND
.LBB2_52:                               ;   in Loop: Header=BB2_21 Depth=1
	s_or_b64 exec, exec, s[38:39]
.LBB2_53:                               ;   in Loop: Header=BB2_21 Depth=1
	s_andn2_saveexec_b64 s[20:21], s[20:21]
	s_cbranch_execz .LBB2_55
; %bb.54:                               ;   in Loop: Header=BB2_21 Depth=1
	s_waitcnt vmcnt(0) lgkmcnt(0)
	buffer_wbinvl1_vol
	s_barrier
.LBB2_55:                               ;   in Loop: Header=BB2_21 Depth=1
	s_or_b64 exec, exec, s[20:21]
.LBB2_56:                               ;   in Loop: Header=BB2_21 Depth=1
	s_or_b64 exec, exec, s[18:19]
	v_accvgpr_read_b32 v0, a22
	v_accvgpr_write_b32 a6, v8
	v_sub_u32_e32 v48, v3, v0
	v_accvgpr_write_b32 a7, v9
	v_cmp_lt_i32_e64 s[18:19], 0, v48
	v_and_b32_e32 v1, 7, v16
	v_mov_b32_e32 v0, v24
	s_and_saveexec_b64 s[20:21], s[18:19]
	s_cbranch_execz .LBB2_64
; %bb.57:                               ;   in Loop: Header=BB2_21 Depth=1
	v_accvgpr_read_b32 v8, a28
	v_accvgpr_read_b32 v18, a38
	s_waitcnt vmcnt(0) lgkmcnt(0)
	v_ashrrev_i32_e32 v0, 31, v2
	v_mov_b32_e32 v3, v16
	v_add_co_u32_e64 v6, vcc, 0, 0
	v_accvgpr_read_b32 v9, a29
	v_accvgpr_read_b32 v19, a39
	v_mul_lo_u32 v4, v1, s54
	v_addc_co_u32_e32 v3, vcc, 1, v3, vcc
	v_mad_u64_u32 v[10:11], vcc, v18, v2, v[8:9]
	v_mul_lo_u32 v7, v19, v2
	v_mul_lo_u32 v0, v18, v0
	v_ashrrev_i32_e32 v5, 31, v4
	v_add3_u32 v11, v7, v11, v0
	v_accvgpr_read_b32 v0, a32
	v_accvgpr_read_b32 v7, a33
	v_mad_u64_u32 v[18:19], vcc, v7, v2, v[0:1]
	v_lshlrev_b64 v[4:5], 4, v[4:5]
	v_accvgpr_read_b32 v0, a35
	v_add_co_u32_e32 v54, vcc, v0, v4
	v_accvgpr_read_b32 v0, a36
	v_addc_co_u32_e32 v55, vcc, v0, v5, vcc
	s_mov_b64 s[38:39], 0
	v_mov_b32_e32 v7, v48
	v_mov_b32_e32 v0, v24
	s_branch .LBB2_59
.LBB2_58:                               ;   in Loop: Header=BB2_59 Depth=2
	s_or_b64 exec, exec, s[40:41]
	v_add_co_u32_e32 v10, vcc, v10, v56
	s_waitcnt vmcnt(0)
	v_alignbit_b32 v2, v9, v2, v18
	v_alignbit_b32 v4, v8, v9, v18
	v_sub_u32_e32 v7, v7, v58
	v_addc_co_u32_e32 v11, vcc, v11, v57, vcc
	v_or_b32_e32 v2, v6, v2
	v_or_b32_e32 v4, v6, v4
	v_mov_b32_e32 v5, v3
	v_cmp_gt_i32_e32 vcc, 1, v7
	global_store_dwordx4 v[54:55], v[2:5], off
	s_or_b64 s[38:39], vcc, s[38:39]
	v_add_co_u32_e32 v54, vcc, v54, v60
	v_add_u32_e32 v0, v0, v20
	v_add_u32_e32 v18, v18, v32
	v_addc_co_u32_e32 v55, vcc, v55, v61, vcc
	s_andn2_b64 exec, exec, s[38:39]
	s_cbranch_execz .LBB2_63
.LBB2_59:                               ;   Parent Loop BB2_21 Depth=1
                                        ; =>  This Inner Loop Header: Depth=2
	v_and_b32_e32 v4, -4, v10
	v_mov_b32_e32 v5, v11
	global_load_dword v2, v[4:5], off glc slc
	v_min_u32_e32 v9, 4, v7
	v_and_b32_e32 v19, 3, v10
	v_lshlrev_b32_e32 v9, 1, v9
	v_add_co_u32_e32 v46, vcc, v19, v9
	v_addc_co_u32_e64 v47, vcc, 0, 0, vcc
	v_mov_b32_e32 v8, 0
	v_cmp_lt_u64_e32 vcc, 4, v[46:47]
	v_mov_b32_e32 v9, 0
	s_and_saveexec_b64 s[40:41], vcc
	s_cbranch_execz .LBB2_61
; %bb.60:                               ;   in Loop: Header=BB2_59 Depth=2
	global_load_dword v9, v[4:5], off offset:4 glc slc
.LBB2_61:                               ;   in Loop: Header=BB2_59 Depth=2
	s_or_b64 exec, exec, s[40:41]
	v_cmp_lt_u64_e32 vcc, 8, v[46:47]
	s_and_saveexec_b64 s[40:41], vcc
	s_cbranch_execz .LBB2_58
; %bb.62:                               ;   in Loop: Header=BB2_59 Depth=2
	global_load_dword v8, v[4:5], off offset:8 glc slc
	s_branch .LBB2_58
.LBB2_63:                               ;   in Loop: Header=BB2_21 Depth=1
	s_or_b64 exec, exec, s[38:39]
.LBB2_64:                               ;   in Loop: Header=BB2_21 Depth=1
	s_or_b64 exec, exec, s[20:21]
	v_and_b32_e32 v40, 0x7ffffff8, v16
	v_cmp_eq_u64_e32 vcc, s[36:37], v[40:41]
	v_cmp_gt_i32_e64 s[20:21], s54, v0
	s_and_b64 s[20:21], vcc, s[20:21]
	s_and_saveexec_b64 s[38:39], s[20:21]
	s_cbranch_execz .LBB2_67
; %bb.65:                               ;   in Loop: Header=BB2_21 Depth=1
	v_mul_lo_u32 v4, v1, s54
	v_mov_b32_e32 v1, v16
	s_waitcnt vmcnt(0) lgkmcnt(0)
	v_add_co_u32_e64 v2, vcc, 0, 0
	v_ashrrev_i32_e32 v5, 31, v4
	v_addc_co_u32_e32 v3, vcc, 1, v1, vcc
	v_ashrrev_i32_e32 v1, 31, v0
	v_lshlrev_b64 v[6:7], 4, v[0:1]
	v_lshlrev_b64 v[4:5], 4, v[4:5]
	v_add_co_u32_e32 v1, vcc, v6, v4
	v_addc_co_u32_e32 v4, vcc, v7, v5, vcc
	v_add_co_u32_e32 v10, vcc, v36, v1
	v_addc_co_u32_e32 v11, vcc, v37, v4, vcc
	s_mov_b64 s[40:41], 0
.LBB2_66:                               ;   Parent Loop BB2_21 Depth=1
                                        ; =>  This Inner Loop Header: Depth=2
	v_mov_b32_e32 v4, v2
	v_mov_b32_e32 v5, v3
	v_add_u32_e32 v0, v0, v20
	global_store_dwordx4 v[10:11], v[2:5], off
	v_cmp_le_i32_e32 vcc, s54, v0
	v_add_co_u32_e64 v10, s[20:21], v10, v60
	s_or_b64 s[40:41], vcc, s[40:41]
	v_addc_co_u32_e64 v11, vcc, v11, v61, s[20:21]
	s_andn2_b64 exec, exec, s[40:41]
	s_cbranch_execnz .LBB2_66
.LBB2_67:                               ;   in Loop: Header=BB2_21 Depth=1
	s_or_b64 exec, exec, s[38:39]
	v_accvgpr_read_b32 v0, a4
	v_accvgpr_read_b32 v1, a5
	v_add_co_u32_e32 v0, vcc, v28, v0
	v_addc_co_u32_e32 v1, vcc, v29, v1, vcc
	v_add_co_u32_e32 v10, vcc, 1, v16
	v_addc_co_u32_e32 v11, vcc, 0, v17, vcc
	s_andn2_b64 vcc, exec, s[34:35]
	v_lshlrev_b64 v[6:7], 1, v[0:1]
	s_cbranch_vccnz .LBB2_165
; %bb.68:                               ;   in Loop: Header=BB2_21 Depth=1
	v_accvgpr_read_b32 v0, a21
	v_add_co_u32_e32 v30, vcc, v0, v6
	v_accvgpr_read_b32 v0, a23
	v_accvgpr_write_b32 a43, v7
	v_accvgpr_write_b32 a31, v31
	v_accvgpr_write_b32 a42, v6
	v_addc_co_u32_e32 v31, vcc, v0, v7, vcc
	v_add_u16_e32 v6, 1, v16
	s_mov_b32 s59, 2
	s_branch .LBB2_70
.LBB2_69:                               ;   in Loop: Header=BB2_70 Depth=2
	s_or_b64 exec, exec, s[38:39]
	v_add_co_u32_e32 v34, vcc, 1, v34
	v_addc_co_u32_e32 v35, vcc, 0, v35, vcc
	s_add_i32 s59, s59, 1
	v_add_co_u32_e32 v10, vcc, 1, v10
	v_addc_co_u32_e32 v11, vcc, 0, v11, vcc
	s_cmp_eq_u32 s59, s22
	v_add_u16_e32 v6, 1, v6
	s_cbranch_scc1 .LBB2_166
.LBB2_70:                               ;   Parent Loop BB2_21 Depth=1
                                        ; =>  This Loop Header: Depth=2
                                        ;       Child Loop BB2_85 Depth 3
                                        ;       Child Loop BB2_101 Depth 3
	;; [unrolled: 1-line block ×3, first 2 shown]
                                        ;         Child Loop BB2_122 Depth 4
                                        ;       Child Loop BB2_154 Depth 3
                                        ;       Child Loop BB2_78 Depth 3
	s_sub_i32 s20, s22, s59
	s_ashr_i32 s21, s20, 31
	s_lshl_b64 s[20:21], s[20:21], 2
	v_mov_b32_e32 v1, s21
	v_add_co_u32_e32 v0, vcc, s20, v22
	v_addc_co_u32_e32 v1, vcc, v23, v1, vcc
	s_waitcnt vmcnt(0) lgkmcnt(0)
	flat_load_dword v2, v[0:1]
	s_and_saveexec_b64 s[20:21], s[6:7]
	s_cbranch_execnz .LBB2_79
; %bb.71:                               ;   in Loop: Header=BB2_70 Depth=2
	s_or_b64 exec, exec, s[20:21]
	s_and_saveexec_b64 s[20:21], s[10:11]
	s_cbranch_execnz .LBB2_94
.LBB2_72:                               ;   in Loop: Header=BB2_70 Depth=2
	s_or_b64 exec, exec, s[20:21]
	v_mov_b32_e32 v0, v24
	s_and_saveexec_b64 s[38:39], s[18:19]
	s_cbranch_execnz .LBB2_112
.LBB2_73:                               ;   in Loop: Header=BB2_70 Depth=2
	s_or_b64 exec, exec, s[38:39]
	s_and_saveexec_b64 s[20:21], s[10:11]
	s_cbranch_execnz .LBB2_147
.LBB2_74:                               ;   in Loop: Header=BB2_70 Depth=2
	s_or_b64 exec, exec, s[20:21]
	s_and_saveexec_b64 s[20:21], s[14:15]
	s_cbranch_execz .LBB2_76
.LBB2_75:                               ;   in Loop: Header=BB2_70 Depth=2
	v_add_co_u32_e32 v38, vcc, 1, v38
	s_waitcnt vmcnt(0) lgkmcnt(0)
	v_accvgpr_read_b32 v2, a16
	v_addc_co_u32_e32 v39, vcc, 0, v39, vcc
	v_accvgpr_read_b32 v3, a17
	flat_store_dwordx2 v[2:3], v[38:39]
.LBB2_76:                               ;   in Loop: Header=BB2_70 Depth=2
	s_or_b64 exec, exec, s[20:21]
	v_and_b32_e32 v40, 0x7ffffff8, v10
	v_cmp_eq_u64_e32 vcc, s[36:37], v[40:41]
	v_cmp_gt_i32_e64 s[20:21], s54, v0
	s_and_b64 s[20:21], vcc, s[20:21]
	s_and_saveexec_b64 s[38:39], s[20:21]
	s_cbranch_execz .LBB2_69
; %bb.77:                               ;   in Loop: Header=BB2_70 Depth=2
	v_and_b32_e32 v1, 7, v6
	s_waitcnt vmcnt(0) lgkmcnt(0)
	v_mul_lo_u32 v2, s54, v1
	v_ashrrev_i32_e32 v3, 31, v2
	v_lshlrev_b64 v[4:5], 4, v[2:3]
	v_mov_b32_e32 v1, v10
	v_add_co_u32_e64 v2, vcc, 0, 0
	v_addc_co_u32_e32 v3, vcc, 1, v1, vcc
	v_ashrrev_i32_e32 v1, 31, v0
	v_lshlrev_b64 v[8:9], 4, v[0:1]
	v_add_co_u32_e32 v1, vcc, v8, v4
	v_addc_co_u32_e32 v4, vcc, v9, v5, vcc
	v_add_co_u32_e32 v16, vcc, v36, v1
	v_addc_co_u32_e32 v17, vcc, v37, v4, vcc
	s_mov_b64 s[40:41], 0
.LBB2_78:                               ;   Parent Loop BB2_21 Depth=1
                                        ;     Parent Loop BB2_70 Depth=2
                                        ; =>    This Inner Loop Header: Depth=3
	v_mov_b32_e32 v4, v2
	v_mov_b32_e32 v5, v3
	v_add_u32_e32 v0, v0, v20
	global_store_dwordx4 v[16:17], v[2:5], off
	v_cmp_le_i32_e32 vcc, s54, v0
	v_add_co_u32_e64 v16, s[20:21], v16, v60
	s_or_b64 s[40:41], vcc, s[40:41]
	v_addc_co_u32_e64 v17, vcc, v17, v61, s[20:21]
	s_andn2_b64 exec, exec, s[40:41]
	s_cbranch_execnz .LBB2_78
	s_branch .LBB2_69
.LBB2_79:                               ;   in Loop: Header=BB2_70 Depth=2
	v_add_co_u32_e32 v0, vcc, 1, v14
	v_addc_co_u32_e32 v1, vcc, 0, v15, vcc
	v_add_co_u32_e32 v4, vcc, 8, v52
	v_addc_co_u32_e32 v5, vcc, 0, v53, vcc
	v_cmp_lt_u64_e32 vcc, v[4:5], v[0:1]
	s_and_saveexec_b64 s[38:39], vcc
	s_cbranch_execz .LBB2_91
; %bb.80:                               ;   in Loop: Header=BB2_70 Depth=2
	s_sleep 1
	flat_load_dwordx2 v[52:53], v[50:51] glc
	v_cmp_eq_u32_e32 vcc, 0, v62
	s_and_saveexec_b64 s[40:41], vcc
	s_cbranch_execz .LBB2_90
; %bb.81:                               ;   in Loop: Header=BB2_70 Depth=2
	v_cndmask_b32_e64 v3, 0, 1, vcc
	s_mov_b64 s[42:43], 0
                                        ; implicit-def: $sgpr44_sgpr45
	s_branch .LBB2_85
.LBB2_82:                               ;   in Loop: Header=BB2_85 Depth=3
	s_or_b64 exec, exec, s[52:53]
	s_orn2_b64 s[50:51], s[50:51], exec
.LBB2_83:                               ;   in Loop: Header=BB2_85 Depth=3
	s_or_b64 exec, exec, s[48:49]
	s_xor_b64 vcc, s[50:51], -1
	s_andn2_b64 s[44:45], s[44:45], exec
	s_and_b64 vcc, vcc, exec
	s_or_b64 s[44:45], s[44:45], vcc
.LBB2_84:                               ;   in Loop: Header=BB2_85 Depth=3
	s_or_b64 exec, exec, s[46:47]
	s_and_b64 vcc, exec, s[44:45]
	s_or_b64 s[42:43], vcc, s[42:43]
	s_andn2_b64 exec, exec, s[42:43]
	s_cbranch_execz .LBB2_89
.LBB2_85:                               ;   Parent Loop BB2_21 Depth=1
                                        ;     Parent Loop BB2_70 Depth=2
                                        ; =>    This Inner Loop Header: Depth=3
	s_waitcnt vmcnt(0) lgkmcnt(0)
	v_add_co_u32_e32 v4, vcc, 8, v52
	v_addc_co_u32_e32 v5, vcc, 0, v53, vcc
	v_cmp_lt_u64_e32 vcc, v[4:5], v[0:1]
	v_mov_b32_e32 v62, 0
	s_or_b64 s[44:45], s[44:45], exec
	s_and_saveexec_b64 s[46:47], vcc
	s_cbranch_execz .LBB2_84
; %bb.86:                               ;   in Loop: Header=BB2_85 Depth=3
	s_sleep 1
	flat_load_dwordx2 v[52:53], v[50:51] glc
	v_add_u32_e32 v3, 1, v3
	v_cmp_eq_u32_e32 vcc, s55, v3
	s_mov_b64 s[50:51], -1
	v_mov_b32_e32 v62, 0
	s_and_saveexec_b64 s[48:49], vcc
	s_cbranch_execz .LBB2_83
; %bb.87:                               ;   in Loop: Header=BB2_85 Depth=3
	s_trap 2
	ds_read_b64 v[4:5], v0
	v_mov_b32_e32 v3, 0
	v_mov_b32_e32 v62, 0
	s_waitcnt vmcnt(0) lgkmcnt(0)
	flat_load_dword v4, v[4:5] glc
	s_waitcnt vmcnt(0) lgkmcnt(0)
	buffer_invl2
	buffer_wbinvl1_vol
	v_cmp_ne_u32_e32 vcc, 0, v4
	s_and_saveexec_b64 s[52:53], vcc
	s_cbranch_execz .LBB2_82
; %bb.88:                               ;   in Loop: Header=BB2_85 Depth=3
	v_mov_b32_e32 v62, 1
	s_xor_b64 s[50:51], exec, -1
	ds_write_b32 v0, v4
	s_trap 2
	s_branch .LBB2_82
.LBB2_89:                               ;   in Loop: Header=BB2_70 Depth=2
	s_or_b64 exec, exec, s[42:43]
.LBB2_90:                               ;   in Loop: Header=BB2_70 Depth=2
	s_or_b64 exec, exec, s[40:41]
.LBB2_91:                               ;   in Loop: Header=BB2_70 Depth=2
	s_or_b64 exec, exec, s[38:39]
	s_and_saveexec_b64 s[38:39], s[8:9]
	s_cbranch_execz .LBB2_93
; %bb.92:                               ;   in Loop: Header=BB2_70 Depth=2
	v_and_b32_e32 v40, 0x7ffffff8, v14
	v_mov_b32_e32 v3, s23
	v_cmp_eq_u64_e32 vcc, s[36:37], v[40:41]
	v_accvgpr_read_b32 v4, a40
	v_cndmask_b32_e32 v4, v4, v3, vcc
	v_and_b32_e32 v3, 7, v14
	v_ashrrev_i32_e32 v5, 31, v4
	v_mad_u64_u32 v[8:9], vcc, v3, 24, v[12:13]
	flat_store_dwordx2 v[8:9], v[4:5] offset:8
	s_waitcnt vmcnt(0)
.LBB2_93:                               ;   in Loop: Header=BB2_70 Depth=2
	s_or_b64 exec, exec, s[38:39]
	v_pk_mov_b32 v[14:15], v[0:1], v[0:1] op_sel:[0,1]
	s_or_b64 exec, exec, s[20:21]
	s_and_saveexec_b64 s[20:21], s[10:11]
	s_cbranch_execz .LBB2_72
.LBB2_94:                               ;   in Loop: Header=BB2_70 Depth=2
	s_and_saveexec_b64 vcc, s[30:31]
	s_xor_b64 s[38:39], exec, vcc
	s_cbranch_execz .LBB2_109
; %bb.95:                               ;   in Loop: Header=BB2_70 Depth=2
	s_and_saveexec_b64 s[40:41], s[12:13]
	s_cbranch_execz .LBB2_108
; %bb.96:                               ;   in Loop: Header=BB2_70 Depth=2
	s_mov_b64 s[44:45], exec
	v_mbcnt_lo_u32_b32 v0, s44, 0
	v_mbcnt_hi_u32_b32 v0, s45, v0
	v_cmp_eq_u32_e32 vcc, 0, v0
	s_waitcnt vmcnt(0) lgkmcnt(0)
	buffer_wbinvl1_vol
	s_and_saveexec_b64 s[42:43], vcc
	s_cbranch_execz .LBB2_98
; %bb.97:                               ;   in Loop: Header=BB2_70 Depth=2
	s_bcnt1_i32_b64 vcc_lo, s[44:45]
	v_mov_b32_e32 v40, vcc_lo
	ds_add_u64 v0, v[40:41]
	s_trap 2
.LBB2_98:                               ;   in Loop: Header=BB2_70 Depth=2
	s_or_b64 exec, exec, s[42:43]
	s_trap 2
	ds_read_b64 v[0:1], v0
	v_accvgpr_read_b32 v4, a20
	v_add_co_u32_e32 v42, vcc, v42, v4
	v_accvgpr_read_b32 v3, a37
	v_addc_co_u32_e32 v43, vcc, v43, v3, vcc
	s_waitcnt lgkmcnt(0)
	v_cmp_lt_u64_e32 vcc, v[0:1], v[42:43]
	s_and_saveexec_b64 s[42:43], vcc
	s_cbranch_execz .LBB2_107
; %bb.99:                               ;   in Loop: Header=BB2_70 Depth=2
	s_mov_b32 s60, 0
	s_mov_b64 s[44:45], 0
                                        ; implicit-def: $sgpr46_sgpr47
                                        ; implicit-def: $sgpr48_sgpr49
	s_branch .LBB2_101
.LBB2_100:                              ;   in Loop: Header=BB2_101 Depth=3
	s_or_b64 exec, exec, s[52:53]
	s_and_b64 vcc, exec, vcc
	s_or_b64 s[44:45], vcc, s[44:45]
	s_andn2_b64 vcc, s[46:47], exec
	s_and_b64 s[46:47], s[48:49], exec
	s_or_b64 s[46:47], vcc, s[46:47]
	s_andn2_b64 exec, exec, s[44:45]
	s_cbranch_execz .LBB2_105
.LBB2_101:                              ;   Parent Loop BB2_21 Depth=1
                                        ;     Parent Loop BB2_70 Depth=2
                                        ; =>    This Inner Loop Header: Depth=3
	s_add_i32 s60, s60, 1
	s_cmpk_lg_i32 s60, 0x2710
	s_cselect_b64 s[50:51], -1, 0
	s_and_b64 vcc, exec, s[50:51]
                                        ; implicit-def: $sgpr52_sgpr53
	s_cbranch_vccnz .LBB2_103
; %bb.102:                              ;   in Loop: Header=BB2_101 Depth=3
	s_trap 2
	ds_read_b64 v[0:1], v0
	s_andn2_b64 s[50:51], s[50:51], exec
	s_mov_b32 s60, 0
	s_mov_b64 s[52:53], -1
	s_waitcnt lgkmcnt(0)
	flat_load_dword v0, v[0:1] glc
	s_waitcnt vmcnt(0) lgkmcnt(0)
	buffer_invl2
	buffer_wbinvl1_vol
	v_cmp_eq_u32_e32 vcc, 0, v0
	s_and_b64 vcc, vcc, exec
	s_or_b64 s[50:51], s[50:51], vcc
.LBB2_103:                              ;   in Loop: Header=BB2_101 Depth=3
	s_andn2_b64 s[48:49], s[48:49], exec
	s_and_b64 s[52:53], s[52:53], exec
	s_mov_b64 vcc, -1
	s_or_b64 s[48:49], s[48:49], s[52:53]
	s_and_saveexec_b64 s[52:53], s[50:51]
	s_cbranch_execz .LBB2_100
; %bb.104:                              ;   in Loop: Header=BB2_101 Depth=3
	s_sleep 1
	s_trap 2
	ds_read_b64 v[0:1], v0
	s_andn2_b64 s[48:49], s[48:49], exec
	s_waitcnt lgkmcnt(0)
	v_cmp_ge_u64_e32 vcc, v[0:1], v[42:43]
	s_orn2_b64 vcc, vcc, exec
	s_branch .LBB2_100
.LBB2_105:                              ;   in Loop: Header=BB2_70 Depth=2
	s_or_b64 exec, exec, s[44:45]
	s_and_saveexec_b64 vcc, s[46:47]
	s_xor_b64 vcc, exec, vcc
	s_cbranch_execz .LBB2_107
; %bb.106:                              ;   in Loop: Header=BB2_70 Depth=2
	v_mov_b32_e32 v0, 1
	ds_write_b32 v0, v0
	s_trap 2
.LBB2_107:                              ;   in Loop: Header=BB2_70 Depth=2
	s_or_b64 exec, exec, s[42:43]
	;;#ASMSTART
	s_wakeup
	;;#ASMEND
.LBB2_108:                              ;   in Loop: Header=BB2_70 Depth=2
	s_or_b64 exec, exec, s[40:41]
.LBB2_109:                              ;   in Loop: Header=BB2_70 Depth=2
	s_andn2_saveexec_b64 vcc, s[38:39]
	s_cbranch_execz .LBB2_111
; %bb.110:                              ;   in Loop: Header=BB2_70 Depth=2
	s_waitcnt vmcnt(0) lgkmcnt(0)
	buffer_wbinvl1_vol
	s_barrier
.LBB2_111:                              ;   in Loop: Header=BB2_70 Depth=2
	s_or_b64 exec, exec, vcc
	s_or_b64 exec, exec, s[20:21]
	v_mov_b32_e32 v0, v24
	s_and_saveexec_b64 s[38:39], s[18:19]
	s_cbranch_execz .LBB2_73
.LBB2_112:                              ;   in Loop: Header=BB2_70 Depth=2
	s_waitcnt vmcnt(0) lgkmcnt(0)
	v_ashrrev_i32_e32 v0, 31, v2
	v_mul_lo_u32 v3, v45, v2
	v_mul_lo_u32 v4, v44, v0
	v_mad_u64_u32 v[0:1], s[20:21], v44, v2, 0
	v_add3_u32 v1, v1, v4, v3
	v_lshlrev_b64 v[0:1], 1, v[0:1]
	v_add_co_u32_e32 v40, vcc, v30, v0
	v_and_b32_e32 v0, 7, v34
	v_mul_lo_u32 v0, v0, s54
	v_addc_co_u32_e32 v21, vcc, v31, v1, vcc
	v_ashrrev_i32_e32 v1, 31, v0
	v_lshlrev_b64 v[0:1], 4, v[0:1]
	v_accvgpr_read_b32 v2, a14
	v_add_co_u32_e32 v7, vcc, v2, v0
	v_and_b32_e32 v0, 7, v10
	v_accvgpr_read_b32 v3, a15
	v_mul_lo_u32 v0, v0, s54
	v_addc_co_u32_e32 v25, vcc, v3, v1, vcc
	v_ashrrev_i32_e32 v1, 31, v0
	v_lshlrev_b64 v[0:1], 4, v[0:1]
	v_add_co_u32_e32 v47, vcc, v36, v0
	v_addc_co_u32_e32 v26, vcc, v37, v1, vcc
	v_mov_b32_e32 v1, v10
	v_add_co_u32_e64 v27, vcc, 0, 0
	v_accvgpr_write_b32 a34, v32
	v_add_u32_e32 v46, 1, v34
	v_addc_co_u32_e32 v3, vcc, 1, v1, vcc
	s_mov_b64 s[40:41], 0
	v_mov_b32_e32 v59, v48
	v_mov_b32_e32 v0, v24
	s_branch .LBB2_114
.LBB2_113:                              ;   in Loop: Header=BB2_114 Depth=3
	s_or_b64 exec, exec, s[20:21]
	v_add_co_u32_e32 v40, vcc, v40, v56
	v_addc_co_u32_e32 v21, vcc, v21, v57, vcc
	v_and_b32_e32 v16, 0xffff0000, v8
	v_add_co_u32_e32 v8, vcc, v47, v4
	v_and_b32_e32 v18, 0xffff0000, v9
	v_addc_co_u32_e32 v9, vcc, v26, v5, vcc
	v_sub_u32_e32 v59, v59, v58
	v_lshrrev_b32_e32 v1, 16, v1
	v_lshrrev_b32_e32 v17, 16, v2
	v_cmp_gt_i32_e32 vcc, 1, v59
	v_or3_b32 v2, v16, v1, v27
	v_or3_b32 v4, v18, v17, v27
	v_mov_b32_e32 v5, v3
	s_or_b64 s[40:41], vcc, s[40:41]
	v_add_u32_e32 v0, v0, v20
	global_store_dwordx4 v[8:9], v[2:5], off
	s_andn2_b64 exec, exec, s[40:41]
	s_cbranch_execz .LBB2_146
.LBB2_114:                              ;   Parent Loop BB2_21 Depth=1
                                        ;     Parent Loop BB2_70 Depth=2
                                        ; =>    This Loop Header: Depth=3
                                        ;         Child Loop BB2_122 Depth 4
	v_and_b32_e32 v4, -4, v40
	v_mov_b32_e32 v5, v21
	global_load_dword v8, v[4:5], off glc slc
	v_min_u32_e32 v1, 4, v59
	v_and_b32_e32 v9, 3, v40
	v_lshlrev_b32_e32 v1, 1, v1
	v_add_co_u32_e32 v16, vcc, v9, v1
	v_addc_co_u32_e64 v17, s[20:21], 0, 0, vcc
	v_mov_b32_e32 v2, 0
	v_cmp_lt_u64_e32 vcc, 4, v[16:17]
	v_mov_b32_e32 v49, 0
	s_and_saveexec_b64 s[20:21], vcc
	s_cbranch_execz .LBB2_116
; %bb.115:                              ;   in Loop: Header=BB2_114 Depth=3
	global_load_dword v49, v[4:5], off offset:4 glc slc
.LBB2_116:                              ;   in Loop: Header=BB2_114 Depth=3
	s_or_b64 exec, exec, s[20:21]
	v_cmp_lt_u64_e32 vcc, 8, v[16:17]
	s_and_saveexec_b64 s[20:21], vcc
	s_cbranch_execz .LBB2_118
; %bb.117:                              ;   in Loop: Header=BB2_114 Depth=3
	global_load_dword v2, v[4:5], off offset:8 glc slc
.LBB2_118:                              ;   in Loop: Header=BB2_114 Depth=3
	s_or_b64 exec, exec, s[20:21]
	v_ashrrev_i32_e32 v1, 31, v0
	v_lshlrev_b64 v[4:5], 4, v[0:1]
	v_add_co_u32_e32 v54, vcc, v7, v4
	v_addc_co_u32_e32 v55, vcc, v25, v5, vcc
	global_load_dwordx4 v[16:19], v[54:55], off glc slc
	v_cmp_eq_u32_e32 vcc, 0, v62
	s_and_saveexec_b64 s[42:43], vcc
	s_cbranch_execz .LBB2_130
; %bb.119:                              ;   in Loop: Header=BB2_114 Depth=3
	s_waitcnt vmcnt(0)
	v_cmp_ne_u32_e32 vcc, v46, v17
	v_cmp_ne_u32_e64 s[20:21], v46, v19
	s_or_b64 s[20:21], vcc, s[20:21]
	v_mov_b32_e32 v62, 0
	s_and_saveexec_b64 s[44:45], s[20:21]
	s_cbranch_execz .LBB2_129
; %bb.120:                              ;   in Loop: Header=BB2_114 Depth=3
	s_mov_b32 s50, 1
	s_mov_b64 s[46:47], 0
	v_mov_b32_e32 v62, 0
	s_branch .LBB2_122
.LBB2_121:                              ;   in Loop: Header=BB2_122 Depth=4
	s_or_b64 exec, exec, s[48:49]
	s_and_b64 s[20:21], exec, s[20:21]
	s_or_b64 s[46:47], s[20:21], s[46:47]
	s_andn2_b64 exec, exec, s[46:47]
	s_cbranch_execz .LBB2_128
.LBB2_122:                              ;   Parent Loop BB2_21 Depth=1
                                        ;     Parent Loop BB2_70 Depth=2
                                        ;       Parent Loop BB2_114 Depth=3
                                        ; =>      This Inner Loop Header: Depth=4
	global_load_dwordx4 v[16:19], v[54:55], off glc slc
	s_add_i32 s50, s50, 1
	s_cmpk_lg_i32 s50, 0x2710
	s_cbranch_scc1 .LBB2_126
; %bb.123:                              ;   in Loop: Header=BB2_122 Depth=4
	s_trap 2
	ds_read_b64 v[32:33], v0
	s_waitcnt vmcnt(0) lgkmcnt(0)
	flat_load_dword v1, v[32:33] glc
	s_waitcnt vmcnt(0) lgkmcnt(0)
	buffer_invl2
	buffer_wbinvl1_vol
	v_cmp_ne_u32_e32 vcc, 0, v1
	s_and_saveexec_b64 s[20:21], vcc
	s_cbranch_execz .LBB2_125
; %bb.124:                              ;   in Loop: Header=BB2_122 Depth=4
	v_mov_b32_e32 v62, 1
	ds_write_b32 v0, v1
	s_trap 2
.LBB2_125:                              ;   in Loop: Header=BB2_122 Depth=4
	s_or_b64 exec, exec, s[20:21]
	s_mov_b32 s50, 0
	v_mov_b32_e32 v1, v62
	v_cmp_eq_u32_e32 vcc, 0, v1
	s_mov_b64 s[20:21], -1
	s_and_saveexec_b64 s[48:49], vcc
	s_cbranch_execz .LBB2_121
	s_branch .LBB2_127
.LBB2_126:                              ;   in Loop: Header=BB2_122 Depth=4
	v_mov_b32_e32 v1, 0
	v_cmp_eq_u32_e32 vcc, 0, v1
	s_mov_b64 s[20:21], -1
	s_and_saveexec_b64 s[48:49], vcc
	s_cbranch_execz .LBB2_121
.LBB2_127:                              ;   in Loop: Header=BB2_122 Depth=4
	s_waitcnt vmcnt(0)
	v_cmp_eq_u32_e32 vcc, v46, v17
	v_cmp_eq_u32_e64 s[20:21], v46, v19
	s_and_b64 s[20:21], vcc, s[20:21]
	s_orn2_b64 s[20:21], s[20:21], exec
	s_branch .LBB2_121
.LBB2_128:                              ;   in Loop: Header=BB2_114 Depth=3
	s_or_b64 exec, exec, s[46:47]
.LBB2_129:                              ;   in Loop: Header=BB2_114 Depth=3
	s_or_b64 exec, exec, s[44:45]
.LBB2_130:                              ;   in Loop: Header=BB2_114 Depth=3
	s_or_b64 exec, exec, s[42:43]
	v_lshlrev_b32_e32 v9, 3, v40
	s_waitcnt vmcnt(1)
	v_alignbit_b32 v8, v49, v8, v9
	s_waitcnt vmcnt(0)
	v_lshlrev_b32_e32 v32, 16, v16
	v_lshlrev_b32_e32 v54, 16, v8
	v_pk_mul_f32 v[54:55], v[32:33], v[54:55] op_sel_hi:[0,1]
	v_and_b32_e32 v1, 0x7f800000, v54
	v_cmp_ne_u32_e32 vcc, s56, v1
                                        ; implicit-def: $vgpr1
	s_and_saveexec_b64 s[20:21], vcc
	s_xor_b64 s[20:21], exec, s[20:21]
; %bb.131:                              ;   in Loop: Header=BB2_114 Depth=3
	v_bfe_u32 v1, v54, 16, 1
	v_add3_u32 v1, v54, v1, s57
                                        ; implicit-def: $vgpr54_vgpr55
; %bb.132:                              ;   in Loop: Header=BB2_114 Depth=3
	s_andn2_saveexec_b64 s[20:21], s[20:21]
; %bb.133:                              ;   in Loop: Header=BB2_114 Depth=3
	v_or_b32_e32 v1, 0x10000, v54
	v_cmp_eq_u32_sdwa vcc, v54, v41 src0_sel:WORD_0 src1_sel:DWORD
	v_cndmask_b32_e32 v1, v1, v54, vcc
; %bb.134:                              ;   in Loop: Header=BB2_114 Depth=3
	s_or_b64 exec, exec, s[20:21]
	v_mov_b32_e32 v17, v16
	v_and_b32_e32 v16, 0xffff0000, v17
	v_and_b32_e32 v8, 0xffff0000, v8
	v_pk_mul_f32 v[16:17], v[16:17], v[8:9] op_sel_hi:[0,1]
	v_and_b32_e32 v8, 0x7f800000, v16
	v_cmp_ne_u32_e32 vcc, s56, v8
                                        ; implicit-def: $vgpr8
	s_and_saveexec_b64 s[20:21], vcc
	s_xor_b64 s[20:21], exec, s[20:21]
; %bb.135:                              ;   in Loop: Header=BB2_114 Depth=3
	v_bfe_u32 v8, v16, 16, 1
	v_add3_u32 v8, v16, v8, s57
                                        ; implicit-def: $vgpr16_vgpr17
; %bb.136:                              ;   in Loop: Header=BB2_114 Depth=3
	s_andn2_saveexec_b64 s[20:21], s[20:21]
; %bb.137:                              ;   in Loop: Header=BB2_114 Depth=3
	v_or_b32_e32 v8, 0x10000, v16
	v_cmp_eq_u32_sdwa vcc, v16, v41 src0_sel:WORD_0 src1_sel:DWORD
	v_cndmask_b32_e32 v8, v8, v16, vcc
; %bb.138:                              ;   in Loop: Header=BB2_114 Depth=3
	s_or_b64 exec, exec, s[20:21]
	v_alignbit_b32 v9, v2, v49, v9
	v_lshlrev_b32_e32 v2, 16, v9
	v_lshlrev_b32_e32 v16, 16, v18
	v_pk_mul_f32 v[16:17], v[16:17], v[2:3] op_sel_hi:[0,1]
	v_and_b32_e32 v2, 0x7f800000, v16
	v_cmp_ne_u32_e32 vcc, s56, v2
                                        ; implicit-def: $vgpr2
	s_and_saveexec_b64 s[20:21], vcc
	s_xor_b64 s[20:21], exec, s[20:21]
; %bb.139:                              ;   in Loop: Header=BB2_114 Depth=3
	v_bfe_u32 v2, v16, 16, 1
	v_add3_u32 v2, v16, v2, s57
                                        ; implicit-def: $vgpr16_vgpr17
; %bb.140:                              ;   in Loop: Header=BB2_114 Depth=3
	s_andn2_saveexec_b64 s[20:21], s[20:21]
; %bb.141:                              ;   in Loop: Header=BB2_114 Depth=3
	v_or_b32_e32 v2, 0x10000, v16
	v_cmp_eq_u32_sdwa vcc, v16, v41 src0_sel:WORD_0 src1_sel:DWORD
	v_cndmask_b32_e32 v2, v2, v16, vcc
; %bb.142:                              ;   in Loop: Header=BB2_114 Depth=3
	s_or_b64 exec, exec, s[20:21]
	v_mov_b32_e32 v17, v18
	v_and_b32_e32 v16, 0xffff0000, v17
	v_and_b32_e32 v18, 0xffff0000, v9
	v_pk_mul_f32 v[16:17], v[16:17], v[18:19] op_sel_hi:[0,1]
	v_and_b32_e32 v9, 0x7f800000, v16
	v_cmp_ne_u32_e32 vcc, s56, v9
                                        ; implicit-def: $vgpr9
	s_and_saveexec_b64 s[20:21], vcc
	s_xor_b64 s[20:21], exec, s[20:21]
; %bb.143:                              ;   in Loop: Header=BB2_114 Depth=3
	v_bfe_u32 v9, v16, 16, 1
	v_add3_u32 v9, v16, v9, s57
                                        ; implicit-def: $vgpr16_vgpr17
; %bb.144:                              ;   in Loop: Header=BB2_114 Depth=3
	s_andn2_saveexec_b64 s[20:21], s[20:21]
	s_cbranch_execz .LBB2_113
; %bb.145:                              ;   in Loop: Header=BB2_114 Depth=3
	v_or_b32_e32 v9, 0x10000, v16
	v_cmp_eq_u32_sdwa vcc, v16, v41 src0_sel:WORD_0 src1_sel:DWORD
	v_cndmask_b32_e32 v9, v9, v16, vcc
	s_branch .LBB2_113
.LBB2_146:                              ;   in Loop: Header=BB2_70 Depth=2
	s_or_b64 exec, exec, s[40:41]
	v_accvgpr_read_b32 v32, a34
	s_or_b64 exec, exec, s[38:39]
	s_and_saveexec_b64 s[20:21], s[10:11]
	s_cbranch_execz .LBB2_74
.LBB2_147:                              ;   in Loop: Header=BB2_70 Depth=2
	s_and_saveexec_b64 vcc, s[30:31]
	s_xor_b64 s[38:39], exec, vcc
	s_cbranch_execz .LBB2_162
; %bb.148:                              ;   in Loop: Header=BB2_70 Depth=2
	s_and_saveexec_b64 s[40:41], s[12:13]
	s_cbranch_execz .LBB2_161
; %bb.149:                              ;   in Loop: Header=BB2_70 Depth=2
	s_mov_b64 s[44:45], exec
	v_mbcnt_lo_u32_b32 v1, s44, 0
	v_mbcnt_hi_u32_b32 v1, s45, v1
	v_cmp_eq_u32_e32 vcc, 0, v1
	s_waitcnt vmcnt(0) lgkmcnt(0)
	buffer_wbinvl1_vol
	s_and_saveexec_b64 s[42:43], vcc
	s_cbranch_execz .LBB2_151
; %bb.150:                              ;   in Loop: Header=BB2_70 Depth=2
	s_bcnt1_i32_b64 vcc_lo, s[44:45]
	v_mov_b32_e32 v40, vcc_lo
	ds_add_u64 v0, v[40:41]
	s_trap 2
.LBB2_151:                              ;   in Loop: Header=BB2_70 Depth=2
	s_or_b64 exec, exec, s[42:43]
	s_trap 2
	ds_read_b64 v[2:3], v0
	v_accvgpr_read_b32 v4, a20
	v_add_co_u32_e32 v42, vcc, v42, v4
	v_accvgpr_read_b32 v1, a37
	v_addc_co_u32_e32 v43, vcc, v43, v1, vcc
	s_waitcnt lgkmcnt(0)
	v_cmp_lt_u64_e32 vcc, v[2:3], v[42:43]
	s_and_saveexec_b64 s[42:43], vcc
	s_cbranch_execz .LBB2_160
; %bb.152:                              ;   in Loop: Header=BB2_70 Depth=2
	s_mov_b32 s60, 0
	s_mov_b64 s[44:45], 0
                                        ; implicit-def: $sgpr46_sgpr47
                                        ; implicit-def: $sgpr48_sgpr49
	s_branch .LBB2_154
.LBB2_153:                              ;   in Loop: Header=BB2_154 Depth=3
	s_or_b64 exec, exec, s[52:53]
	s_and_b64 vcc, exec, vcc
	s_or_b64 s[44:45], vcc, s[44:45]
	s_andn2_b64 vcc, s[46:47], exec
	s_and_b64 s[46:47], s[48:49], exec
	s_or_b64 s[46:47], vcc, s[46:47]
	s_andn2_b64 exec, exec, s[44:45]
	s_cbranch_execz .LBB2_158
.LBB2_154:                              ;   Parent Loop BB2_21 Depth=1
                                        ;     Parent Loop BB2_70 Depth=2
                                        ; =>    This Inner Loop Header: Depth=3
	s_add_i32 s60, s60, 1
	s_cmpk_lg_i32 s60, 0x2710
	s_cselect_b64 s[50:51], -1, 0
	s_and_b64 vcc, exec, s[50:51]
                                        ; implicit-def: $sgpr52_sgpr53
	s_cbranch_vccnz .LBB2_156
; %bb.155:                              ;   in Loop: Header=BB2_154 Depth=3
	s_trap 2
	ds_read_b64 v[2:3], v0
	s_andn2_b64 s[50:51], s[50:51], exec
	s_mov_b32 s60, 0
	s_mov_b64 s[52:53], -1
	s_waitcnt lgkmcnt(0)
	flat_load_dword v1, v[2:3] glc
	s_waitcnt vmcnt(0) lgkmcnt(0)
	buffer_invl2
	buffer_wbinvl1_vol
	v_cmp_eq_u32_e32 vcc, 0, v1
	s_and_b64 vcc, vcc, exec
	s_or_b64 s[50:51], s[50:51], vcc
.LBB2_156:                              ;   in Loop: Header=BB2_154 Depth=3
	s_andn2_b64 s[48:49], s[48:49], exec
	s_and_b64 s[52:53], s[52:53], exec
	s_mov_b64 vcc, -1
	s_or_b64 s[48:49], s[48:49], s[52:53]
	s_and_saveexec_b64 s[52:53], s[50:51]
	s_cbranch_execz .LBB2_153
; %bb.157:                              ;   in Loop: Header=BB2_154 Depth=3
	s_sleep 1
	s_trap 2
	ds_read_b64 v[2:3], v0
	s_andn2_b64 s[48:49], s[48:49], exec
	s_waitcnt lgkmcnt(0)
	v_cmp_ge_u64_e32 vcc, v[2:3], v[42:43]
	s_orn2_b64 vcc, vcc, exec
	s_branch .LBB2_153
.LBB2_158:                              ;   in Loop: Header=BB2_70 Depth=2
	s_or_b64 exec, exec, s[44:45]
	s_and_saveexec_b64 vcc, s[46:47]
	s_xor_b64 vcc, exec, vcc
	s_cbranch_execz .LBB2_160
; %bb.159:                              ;   in Loop: Header=BB2_70 Depth=2
	v_mov_b32_e32 v1, 1
	ds_write_b32 v0, v1
	s_trap 2
.LBB2_160:                              ;   in Loop: Header=BB2_70 Depth=2
	s_or_b64 exec, exec, s[42:43]
	;;#ASMSTART
	s_wakeup
	;;#ASMEND
.LBB2_161:                              ;   in Loop: Header=BB2_70 Depth=2
	s_or_b64 exec, exec, s[40:41]
.LBB2_162:                              ;   in Loop: Header=BB2_70 Depth=2
	s_andn2_saveexec_b64 vcc, s[38:39]
	s_cbranch_execz .LBB2_164
; %bb.163:                              ;   in Loop: Header=BB2_70 Depth=2
	s_waitcnt vmcnt(0) lgkmcnt(0)
	buffer_wbinvl1_vol
	s_barrier
.LBB2_164:                              ;   in Loop: Header=BB2_70 Depth=2
	s_or_b64 exec, exec, vcc
	s_or_b64 exec, exec, s[20:21]
	s_and_saveexec_b64 s[20:21], s[14:15]
	s_cbranch_execnz .LBB2_75
	s_branch .LBB2_76
.LBB2_165:                              ;   in Loop: Header=BB2_21 Depth=1
	v_pk_mov_b32 v[16:17], v[10:11], v[10:11] op_sel:[0,1]
	s_and_saveexec_b64 s[20:21], s[18:19]
	s_cbranch_execnz .LBB2_167
	s_branch .LBB2_212
.LBB2_166:                              ;   in Loop: Header=BB2_21 Depth=1
	v_accvgpr_read_b32 v6, a42
	v_pk_mov_b32 v[16:17], v[10:11], v[10:11] op_sel:[0,1]
	v_accvgpr_read_b32 v31, a31
	v_accvgpr_read_b32 v7, a43
	s_and_saveexec_b64 s[20:21], s[18:19]
	s_cbranch_execz .LBB2_212
.LBB2_167:                              ;   in Loop: Header=BB2_21 Depth=1
	flat_load_dword v4, v[22:23]
	s_waitcnt vmcnt(0) lgkmcnt(0)
	v_accvgpr_read_b32 v2, a8
	v_accvgpr_read_b32 v3, a9
	v_add_co_u32_e32 v5, vcc, v2, v6
	v_and_b32_e32 v2, 7, v34
	v_addc_co_u32_e32 v8, vcc, v3, v7, vcc
	v_accvgpr_read_b32 v0, a26
	v_mul_lo_u32 v2, v2, s54
	v_add_co_u32_e32 v0, vcc, v0, v6
	v_accvgpr_read_b32 v1, a27
	v_ashrrev_i32_e32 v3, 31, v2
	v_addc_co_u32_e32 v1, vcc, v1, v7, vcc
	v_lshlrev_b64 v[2:3], 4, v[2:3]
	v_accvgpr_read_b32 v10, a14
	v_accvgpr_read_b32 v11, a15
	v_add_co_u32_e32 v7, vcc, v10, v2
	v_addc_co_u32_e32 v21, vcc, v11, v3, vcc
	v_add_u32_e32 v6, 1, v34
	s_mov_b64 s[38:39], 0
	v_mov_b32_e32 v18, v24
	v_ashrrev_i32_e32 v9, 31, v4
	v_mul_lo_u32 v10, v45, v4
	v_mad_u64_u32 v[2:3], s[18:19], v44, v4, 0
	v_mul_lo_u32 v4, v44, v9
	v_add3_u32 v3, v3, v4, v10
	v_lshlrev_b64 v[2:3], 1, v[2:3]
	v_add_co_u32_e32 v2, vcc, v5, v2
	v_addc_co_u32_e32 v3, vcc, v8, v3, vcc
	v_accvgpr_read_b32 v4, a24
	v_accvgpr_read_b32 v5, a25
	v_add_co_u32_e32 v10, vcc, v2, v4
	v_addc_co_u32_e32 v11, vcc, v3, v5, vcc
	s_branch .LBB2_169
.LBB2_168:                              ;   in Loop: Header=BB2_169 Depth=2
	v_add_co_u32_e32 v10, vcc, v10, v56
	v_addc_co_u32_e32 v11, vcc, v11, v57, vcc
	v_add_co_u32_e32 v0, vcc, v0, v56
	v_addc_co_u32_e32 v1, vcc, v1, v57, vcc
	v_sub_u32_e32 v48, v48, v58
	v_cmp_gt_i32_e32 vcc, 1, v48
	s_or_b64 s[38:39], vcc, s[38:39]
	v_add_u32_e32 v18, v18, v20
	s_andn2_b64 exec, exec, s[38:39]
	s_cbranch_execz .LBB2_211
.LBB2_169:                              ;   Parent Loop BB2_21 Depth=1
                                        ; =>  This Loop Header: Depth=2
                                        ;       Child Loop BB2_177 Depth 3
	v_and_b32_e32 v2, -4, v10
	v_mov_b32_e32 v3, v11
	global_load_dword v27, v[2:3], off glc slc
	v_min_u32_e32 v4, 4, v48
	v_and_b32_e32 v5, 3, v10
	v_lshlrev_b32_e32 v4, 1, v4
	v_add_co_u32_e32 v4, vcc, v5, v4
	v_addc_co_u32_e64 v5, s[18:19], 0, 0, vcc
	v_mov_b32_e32 v25, 0
	v_cmp_lt_u64_e32 vcc, 4, v[4:5]
	v_mov_b32_e32 v26, 0
	s_and_saveexec_b64 s[18:19], vcc
	s_cbranch_execz .LBB2_171
; %bb.170:                              ;   in Loop: Header=BB2_169 Depth=2
	global_load_dword v26, v[2:3], off offset:4 glc slc
.LBB2_171:                              ;   in Loop: Header=BB2_169 Depth=2
	s_or_b64 exec, exec, s[18:19]
	v_cmp_lt_u64_e32 vcc, 8, v[4:5]
	s_and_saveexec_b64 s[18:19], vcc
	s_cbranch_execz .LBB2_173
; %bb.172:                              ;   in Loop: Header=BB2_169 Depth=2
	global_load_dword v25, v[2:3], off offset:8 glc slc
.LBB2_173:                              ;   in Loop: Header=BB2_169 Depth=2
	s_or_b64 exec, exec, s[18:19]
	v_ashrrev_i32_e32 v19, 31, v18
	v_lshlrev_b64 v[2:3], 4, v[18:19]
	v_add_co_u32_e32 v46, vcc, v7, v2
	v_addc_co_u32_e32 v47, vcc, v21, v3, vcc
	global_load_dwordx4 v[2:5], v[46:47], off glc slc
	v_cmp_eq_u32_e32 vcc, 0, v62
	s_and_saveexec_b64 s[40:41], vcc
	s_cbranch_execz .LBB2_185
; %bb.174:                              ;   in Loop: Header=BB2_169 Depth=2
	s_waitcnt vmcnt(0)
	v_cmp_ne_u32_e32 vcc, v6, v3
	v_cmp_ne_u32_e64 s[18:19], v6, v5
	s_or_b64 s[18:19], vcc, s[18:19]
	v_mov_b32_e32 v62, 0
	s_and_saveexec_b64 s[42:43], s[18:19]
	s_cbranch_execz .LBB2_184
; %bb.175:                              ;   in Loop: Header=BB2_169 Depth=2
	s_mov_b32 s48, 1
	s_mov_b64 s[44:45], 0
	v_mov_b32_e32 v62, 0
	s_branch .LBB2_177
.LBB2_176:                              ;   in Loop: Header=BB2_177 Depth=3
	s_or_b64 exec, exec, s[46:47]
	s_and_b64 s[18:19], exec, s[18:19]
	s_or_b64 s[44:45], s[18:19], s[44:45]
	s_andn2_b64 exec, exec, s[44:45]
	s_cbranch_execz .LBB2_183
.LBB2_177:                              ;   Parent Loop BB2_21 Depth=1
                                        ;     Parent Loop BB2_169 Depth=2
                                        ; =>    This Inner Loop Header: Depth=3
	global_load_dwordx4 v[2:5], v[46:47], off glc slc
	s_add_i32 s48, s48, 1
	s_cmpk_lg_i32 s48, 0x2710
	s_cbranch_scc1 .LBB2_181
; %bb.178:                              ;   in Loop: Header=BB2_177 Depth=3
	s_trap 2
	ds_read_b64 v[8:9], v0
	s_waitcnt vmcnt(0) lgkmcnt(0)
	flat_load_dword v8, v[8:9] glc
	s_waitcnt vmcnt(0) lgkmcnt(0)
	buffer_invl2
	buffer_wbinvl1_vol
	v_cmp_ne_u32_e32 vcc, 0, v8
	s_and_saveexec_b64 s[18:19], vcc
	s_cbranch_execz .LBB2_180
; %bb.179:                              ;   in Loop: Header=BB2_177 Depth=3
	v_mov_b32_e32 v62, 1
	ds_write_b32 v0, v8
	s_trap 2
.LBB2_180:                              ;   in Loop: Header=BB2_177 Depth=3
	s_or_b64 exec, exec, s[18:19]
	s_mov_b32 s48, 0
	v_mov_b32_e32 v8, v62
	v_cmp_eq_u32_e32 vcc, 0, v8
	s_mov_b64 s[18:19], -1
	s_and_saveexec_b64 s[46:47], vcc
	s_cbranch_execz .LBB2_176
	s_branch .LBB2_182
.LBB2_181:                              ;   in Loop: Header=BB2_177 Depth=3
	v_mov_b32_e32 v8, 0
	v_cmp_eq_u32_e32 vcc, 0, v8
	s_mov_b64 s[18:19], -1
	s_and_saveexec_b64 s[46:47], vcc
	s_cbranch_execz .LBB2_176
.LBB2_182:                              ;   in Loop: Header=BB2_177 Depth=3
	s_waitcnt vmcnt(0)
	v_cmp_eq_u32_e32 vcc, v6, v3
	v_cmp_eq_u32_e64 s[18:19], v6, v5
	s_and_b64 s[18:19], vcc, s[18:19]
	s_orn2_b64 s[18:19], s[18:19], exec
	s_branch .LBB2_176
.LBB2_183:                              ;   in Loop: Header=BB2_169 Depth=2
	s_or_b64 exec, exec, s[44:45]
.LBB2_184:                              ;   in Loop: Header=BB2_169 Depth=2
	s_or_b64 exec, exec, s[42:43]
.LBB2_185:                              ;   in Loop: Header=BB2_169 Depth=2
	s_or_b64 exec, exec, s[40:41]
	v_lshlrev_b32_e32 v9, 3, v10
	s_waitcnt vmcnt(0)
	v_alignbit_b32 v3, v26, v27, v9
	v_lshlrev_b32_e32 v8, 16, v2
	v_lshlrev_b32_e32 v30, 16, v3
	v_pk_mul_f32 v[54:55], v[8:9], v[30:31] op_sel_hi:[0,1]
	v_and_b32_e32 v5, 0x7f800000, v54
	v_cmp_ne_u32_e32 vcc, s56, v5
                                        ; implicit-def: $vgpr5
	s_and_saveexec_b64 s[18:19], vcc
	s_xor_b64 s[18:19], exec, s[18:19]
; %bb.186:                              ;   in Loop: Header=BB2_169 Depth=2
	v_bfe_u32 v5, v54, 16, 1
	v_add3_u32 v5, v54, v5, s57
                                        ; implicit-def: $vgpr54_vgpr55
; %bb.187:                              ;   in Loop: Header=BB2_169 Depth=2
	s_andn2_saveexec_b64 s[18:19], s[18:19]
; %bb.188:                              ;   in Loop: Header=BB2_169 Depth=2
	v_or_b32_e32 v5, 0x10000, v54
	v_cmp_eq_u32_sdwa vcc, v54, v41 src0_sel:WORD_0 src1_sel:DWORD
	v_cndmask_b32_e32 v5, v5, v54, vcc
; %bb.189:                              ;   in Loop: Header=BB2_169 Depth=2
	s_or_b64 exec, exec, s[18:19]
	v_mov_b32_e32 v19, v2
	v_and_b32_e32 v2, 0xffff0000, v19
	v_and_b32_e32 v8, 0xffff0000, v3
	v_pk_mul_f32 v[2:3], v[2:3], v[8:9] op_sel_hi:[0,1]
	v_and_b32_e32 v3, 0x7f800000, v2
	v_cmp_ne_u32_e32 vcc, s56, v3
                                        ; implicit-def: $vgpr8
	s_and_saveexec_b64 s[18:19], vcc
	s_xor_b64 s[18:19], exec, s[18:19]
; %bb.190:                              ;   in Loop: Header=BB2_169 Depth=2
	v_bfe_u32 v3, v2, 16, 1
	v_add3_u32 v8, v2, v3, s57
                                        ; implicit-def: $vgpr2_vgpr3
; %bb.191:                              ;   in Loop: Header=BB2_169 Depth=2
	s_andn2_saveexec_b64 s[18:19], s[18:19]
; %bb.192:                              ;   in Loop: Header=BB2_169 Depth=2
	v_or_b32_e32 v3, 0x10000, v2
	v_cmp_eq_u32_sdwa vcc, v2, v41 src0_sel:WORD_0 src1_sel:DWORD
	v_cndmask_b32_e32 v8, v3, v2, vcc
; %bb.193:                              ;   in Loop: Header=BB2_169 Depth=2
	s_or_b64 exec, exec, s[18:19]
	v_alignbit_b32 v19, v25, v26, v9
	v_lshlrev_b32_e32 v2, 16, v19
	v_lshlrev_b32_e32 v26, 16, v4
	v_pk_mul_f32 v[2:3], v[26:27], v[2:3] op_sel_hi:[0,1]
	v_and_b32_e32 v3, 0x7f800000, v2
	v_cmp_ne_u32_e32 vcc, s56, v3
                                        ; implicit-def: $vgpr9
	s_and_saveexec_b64 s[18:19], vcc
	s_xor_b64 s[18:19], exec, s[18:19]
; %bb.194:                              ;   in Loop: Header=BB2_169 Depth=2
	v_bfe_u32 v3, v2, 16, 1
	v_add3_u32 v9, v2, v3, s57
                                        ; implicit-def: $vgpr2_vgpr3
; %bb.195:                              ;   in Loop: Header=BB2_169 Depth=2
	s_andn2_saveexec_b64 s[18:19], s[18:19]
; %bb.196:                              ;   in Loop: Header=BB2_169 Depth=2
	v_or_b32_e32 v3, 0x10000, v2
	v_cmp_eq_u32_sdwa vcc, v2, v41 src0_sel:WORD_0 src1_sel:DWORD
	v_cndmask_b32_e32 v9, v3, v2, vcc
; %bb.197:                              ;   in Loop: Header=BB2_169 Depth=2
	s_or_b64 exec, exec, s[18:19]
	v_mov_b32_e32 v3, v4
	v_and_b32_e32 v2, 0xffff0000, v3
	v_and_b32_e32 v4, 0xffff0000, v19
	v_pk_mul_f32 v[2:3], v[2:3], v[4:5] op_sel_hi:[0,1]
	v_and_b32_e32 v3, 0x7f800000, v2
	v_cmp_ne_u32_e32 vcc, s56, v3
                                        ; implicit-def: $vgpr4
	s_and_saveexec_b64 s[18:19], vcc
	s_xor_b64 s[18:19], exec, s[18:19]
; %bb.198:                              ;   in Loop: Header=BB2_169 Depth=2
	v_bfe_u32 v3, v2, 16, 1
	v_add3_u32 v4, v2, v3, s57
                                        ; implicit-def: $vgpr2_vgpr3
; %bb.199:                              ;   in Loop: Header=BB2_169 Depth=2
	s_andn2_saveexec_b64 s[18:19], s[18:19]
; %bb.200:                              ;   in Loop: Header=BB2_169 Depth=2
	v_or_b32_e32 v3, 0x10000, v2
	v_cmp_eq_u32_sdwa vcc, v2, v41 src0_sel:WORD_0 src1_sel:DWORD
	v_cndmask_b32_e32 v4, v3, v2, vcc
; %bb.201:                              ;   in Loop: Header=BB2_169 Depth=2
	s_or_b64 exec, exec, s[18:19]
	v_cmp_lt_u32_e32 vcc, 3, v48
	s_and_b64 s[18:19], s[16:17], vcc
	v_cndmask_b32_e64 v2, 0, 1, s[18:19]
	;;#ASMSTART
	;;#ASMEND
	v_cmp_ne_u32_e64 s[18:19], 0, v2
	s_cmp_lg_u64 s[18:19], exec
	s_mov_b64 s[18:19], -1
	s_cbranch_scc0 .LBB2_207
; %bb.202:                              ;   in Loop: Header=BB2_169 Depth=2
	v_cmp_ne_u32_e64 s[18:19], 1, v48
	flat_store_short_d16_hi v[0:1], v5
	s_and_saveexec_b64 s[40:41], s[18:19]
	s_cbranch_execnz .LBB2_209
; %bb.203:                              ;   in Loop: Header=BB2_169 Depth=2
	s_or_b64 exec, exec, s[40:41]
	v_cmp_lt_u32_e64 s[18:19], 2, v48
	s_and_saveexec_b64 s[40:41], s[18:19]
	s_cbranch_execnz .LBB2_210
.LBB2_204:                              ;   in Loop: Header=BB2_169 Depth=2
	s_or_b64 exec, exec, s[40:41]
	s_and_saveexec_b64 s[18:19], vcc
	s_cbranch_execz .LBB2_206
.LBB2_205:                              ;   in Loop: Header=BB2_169 Depth=2
	flat_store_short_d16_hi v[0:1], v4 offset:6
.LBB2_206:                              ;   in Loop: Header=BB2_169 Depth=2
	s_or_b64 exec, exec, s[18:19]
	s_mov_b64 s[18:19], 0
.LBB2_207:                              ;   in Loop: Header=BB2_169 Depth=2
	s_and_b64 vcc, exec, s[18:19]
	s_cbranch_vccz .LBB2_168
; %bb.208:                              ;   in Loop: Header=BB2_169 Depth=2
	v_lshrrev_b32_e32 v2, 16, v5
	v_lshrrev_b32_e32 v3, 16, v9
	v_and_or_b32 v2, v8, s58, v2
	v_and_or_b32 v3, v4, s58, v3
	global_store_dwordx2 v[0:1], v[2:3], off
	s_branch .LBB2_168
.LBB2_209:                              ;   in Loop: Header=BB2_169 Depth=2
	flat_store_short_d16_hi v[0:1], v8 offset:2
	s_or_b64 exec, exec, s[40:41]
	v_cmp_lt_u32_e64 s[18:19], 2, v48
	s_and_saveexec_b64 s[40:41], s[18:19]
	s_cbranch_execz .LBB2_204
.LBB2_210:                              ;   in Loop: Header=BB2_169 Depth=2
	flat_store_short_d16_hi v[0:1], v9 offset:4
	s_or_b64 exec, exec, s[40:41]
	s_and_saveexec_b64 s[18:19], vcc
	s_cbranch_execnz .LBB2_205
	s_branch .LBB2_206
.LBB2_211:                              ;   in Loop: Header=BB2_21 Depth=1
	s_or_b64 exec, exec, s[38:39]
.LBB2_212:                              ;   in Loop: Header=BB2_21 Depth=1
	s_or_b64 exec, exec, s[20:21]
	v_accvgpr_read_b32 v5, a3
	v_accvgpr_read_b32 v9, a7
	;; [unrolled: 1-line block ×4, first 2 shown]
	s_and_saveexec_b64 s[18:19], s[10:11]
	s_cbranch_execz .LBB2_231
; %bb.213:                              ;   in Loop: Header=BB2_21 Depth=1
	s_and_saveexec_b64 s[20:21], s[30:31]
	s_xor_b64 s[20:21], exec, s[20:21]
	s_cbranch_execz .LBB2_228
; %bb.214:                              ;   in Loop: Header=BB2_21 Depth=1
	s_and_saveexec_b64 s[38:39], s[12:13]
	s_cbranch_execz .LBB2_227
; %bb.215:                              ;   in Loop: Header=BB2_21 Depth=1
	s_mov_b64 s[42:43], exec
	v_mbcnt_lo_u32_b32 v0, s42, 0
	v_mbcnt_hi_u32_b32 v0, s43, v0
	v_cmp_eq_u32_e32 vcc, 0, v0
	s_waitcnt vmcnt(0) lgkmcnt(0)
	buffer_wbinvl1_vol
	s_and_saveexec_b64 s[40:41], vcc
	s_cbranch_execz .LBB2_217
; %bb.216:                              ;   in Loop: Header=BB2_21 Depth=1
	s_bcnt1_i32_b64 vcc_lo, s[42:43]
	v_mov_b32_e32 v40, vcc_lo
	ds_add_u64 v0, v[40:41]
	s_trap 2
.LBB2_217:                              ;   in Loop: Header=BB2_21 Depth=1
	s_or_b64 exec, exec, s[40:41]
	s_trap 2
	ds_read_b64 v[0:1], v0
	v_accvgpr_read_b32 v2, a20
	v_add_co_u32_e32 v42, vcc, v42, v2
	v_accvgpr_read_b32 v3, a37
	v_addc_co_u32_e32 v43, vcc, v43, v3, vcc
	s_waitcnt lgkmcnt(0)
	v_cmp_lt_u64_e32 vcc, v[0:1], v[42:43]
	s_and_saveexec_b64 s[40:41], vcc
	s_cbranch_execz .LBB2_226
; %bb.218:                              ;   in Loop: Header=BB2_21 Depth=1
	s_mov_b32 s52, 0
	s_mov_b64 s[42:43], 0
                                        ; implicit-def: $sgpr44_sgpr45
                                        ; implicit-def: $sgpr46_sgpr47
	s_branch .LBB2_220
.LBB2_219:                              ;   in Loop: Header=BB2_220 Depth=2
	s_or_b64 exec, exec, s[50:51]
	s_and_b64 vcc, exec, vcc
	s_or_b64 s[42:43], vcc, s[42:43]
	s_andn2_b64 vcc, s[44:45], exec
	s_and_b64 s[44:45], s[46:47], exec
	s_or_b64 s[44:45], vcc, s[44:45]
	s_andn2_b64 exec, exec, s[42:43]
	s_cbranch_execz .LBB2_224
.LBB2_220:                              ;   Parent Loop BB2_21 Depth=1
                                        ; =>  This Inner Loop Header: Depth=2
	s_add_i32 s52, s52, 1
	s_cmpk_lg_i32 s52, 0x2710
	s_cselect_b64 s[48:49], -1, 0
	s_and_b64 vcc, exec, s[48:49]
                                        ; implicit-def: $sgpr50_sgpr51
	s_cbranch_vccnz .LBB2_222
; %bb.221:                              ;   in Loop: Header=BB2_220 Depth=2
	s_trap 2
	ds_read_b64 v[0:1], v0
	s_andn2_b64 s[48:49], s[48:49], exec
	s_mov_b32 s52, 0
	s_mov_b64 s[50:51], -1
	s_waitcnt lgkmcnt(0)
	flat_load_dword v0, v[0:1] glc
	s_waitcnt vmcnt(0) lgkmcnt(0)
	buffer_invl2
	buffer_wbinvl1_vol
	v_cmp_eq_u32_e32 vcc, 0, v0
	s_and_b64 vcc, vcc, exec
	s_or_b64 s[48:49], s[48:49], vcc
.LBB2_222:                              ;   in Loop: Header=BB2_220 Depth=2
	s_andn2_b64 s[46:47], s[46:47], exec
	s_and_b64 s[50:51], s[50:51], exec
	s_mov_b64 vcc, -1
	s_or_b64 s[46:47], s[46:47], s[50:51]
	s_and_saveexec_b64 s[50:51], s[48:49]
	s_cbranch_execz .LBB2_219
; %bb.223:                              ;   in Loop: Header=BB2_220 Depth=2
	s_sleep 1
	s_trap 2
	ds_read_b64 v[0:1], v0
	s_andn2_b64 s[46:47], s[46:47], exec
	s_waitcnt lgkmcnt(0)
	v_cmp_ge_u64_e32 vcc, v[0:1], v[42:43]
	s_orn2_b64 vcc, vcc, exec
	s_branch .LBB2_219
.LBB2_224:                              ;   in Loop: Header=BB2_21 Depth=1
	s_or_b64 exec, exec, s[42:43]
	s_and_saveexec_b64 vcc, s[44:45]
	s_xor_b64 vcc, exec, vcc
	s_cbranch_execz .LBB2_226
; %bb.225:                              ;   in Loop: Header=BB2_21 Depth=1
	v_mov_b32_e32 v0, 1
	ds_write_b32 v0, v0
	s_trap 2
.LBB2_226:                              ;   in Loop: Header=BB2_21 Depth=1
	s_or_b64 exec, exec, s[40:41]
	;;#ASMSTART
	s_wakeup
	;;#ASMEND
.LBB2_227:                              ;   in Loop: Header=BB2_21 Depth=1
	s_or_b64 exec, exec, s[38:39]
.LBB2_228:                              ;   in Loop: Header=BB2_21 Depth=1
	s_andn2_saveexec_b64 s[20:21], s[20:21]
	s_cbranch_execz .LBB2_230
; %bb.229:                              ;   in Loop: Header=BB2_21 Depth=1
	s_waitcnt vmcnt(0) lgkmcnt(0)
	buffer_wbinvl1_vol
	s_barrier
.LBB2_230:                              ;   in Loop: Header=BB2_21 Depth=1
	s_or_b64 exec, exec, s[20:21]
.LBB2_231:                              ;   in Loop: Header=BB2_21 Depth=1
	s_or_b64 exec, exec, s[18:19]
	s_and_saveexec_b64 s[18:19], s[14:15]
	s_cbranch_execz .LBB2_20
; %bb.232:                              ;   in Loop: Header=BB2_21 Depth=1
	v_add_co_u32_e32 v38, vcc, 1, v38
	v_accvgpr_read_b32 v0, a16
	v_addc_co_u32_e32 v39, vcc, 0, v39, vcc
	v_accvgpr_read_b32 v1, a17
	flat_store_dwordx2 v[0:1], v[38:39]
	s_branch .LBB2_20
.LBB2_233:
	s_or_b64 exec, exec, s[28:29]
	v_accvgpr_read_b32 v19, a11
	v_accvgpr_read_b32 v27, a13
	;; [unrolled: 1-line block ×6, first 2 shown]
.LBB2_234:
	s_or_b64 exec, exec, s[26:27]
; %bb.235:
	s_and_saveexec_b64 s[6:7], s[24:25]
	s_cbranch_execnz .LBB2_238
; %bb.236:
	s_or_b64 exec, exec, s[6:7]
	s_and_saveexec_b64 s[6:7], s[4:5]
	s_cbranch_execnz .LBB2_239
.LBB2_237:
	s_or_b64 exec, exec, s[6:7]
	v_cmp_ne_u32_e32 vcc, 64, v20
	s_and_saveexec_b64 s[4:5], vcc
	s_cbranch_execnz .LBB2_240
	s_branch .LBB2_257
.LBB2_238:
	s_waitcnt vmcnt(0) lgkmcnt(0)
	flat_store_dwordx2 v[26:27], v[38:39] offset:104
	s_or_b64 exec, exec, s[6:7]
	s_and_saveexec_b64 s[6:7], s[4:5]
	s_cbranch_execz .LBB2_237
.LBB2_239:
	s_waitcnt vmcnt(0) lgkmcnt(0)
	flat_store_dwordx2 v[18:19], v[14:15] offset:104
	s_or_b64 exec, exec, s[6:7]
	v_cmp_ne_u32_e32 vcc, 64, v20
	s_and_saveexec_b64 s[4:5], vcc
	s_cbranch_execz .LBB2_257
.LBB2_240:
	v_cmp_ne_u32_sdwa s[6:7], v11, v20 src0_sel:WORD_0 src1_sel:DWORD
	s_and_saveexec_b64 s[8:9], s[6:7]
	s_xor_b64 s[6:7], exec, s[8:9]
	s_cbranch_execz .LBB2_255
; %bb.241:
	v_and_b32_e32 v0, 63, v31
	v_cmp_eq_u32_e32 vcc, 0, v0
	s_and_saveexec_b64 s[8:9], vcc
	s_cbranch_execz .LBB2_254
; %bb.242:
	s_mov_b64 s[12:13], exec
	v_mbcnt_lo_u32_b32 v0, s12, 0
	v_mbcnt_hi_u32_b32 v0, s13, v0
	v_cmp_eq_u32_e32 vcc, 0, v0
	s_waitcnt vmcnt(0) lgkmcnt(0)
	buffer_wbinvl1_vol
	s_and_saveexec_b64 s[10:11], vcc
	s_cbranch_execz .LBB2_244
; %bb.243:
	s_bcnt1_i32_b64 s12, s[12:13]
	v_mov_b32_e32 v0, s12
	v_mov_b32_e32 v1, 0
	ds_add_u64 v0, v[0:1]
	s_trap 2
.LBB2_244:
	s_or_b64 exec, exec, s[10:11]
	v_ashrrev_i32_e32 v0, 31, v20
	v_lshrrev_b32_e32 v0, 26, v0
	v_add_u32_e32 v0, v20, v0
	v_ashrrev_i32_e32 v0, 6, v0
	s_trap 2
	ds_read_b64 v[2:3], v0
	v_ashrrev_i32_e32 v1, 31, v0
	v_add_co_u32_e32 v0, vcc, v42, v0
	v_addc_co_u32_e32 v1, vcc, v43, v1, vcc
	s_waitcnt lgkmcnt(0)
	v_cmp_lt_u64_e32 vcc, v[2:3], v[0:1]
	s_and_saveexec_b64 s[10:11], vcc
	s_cbranch_execz .LBB2_253
; %bb.245:
	s_mov_b32 s24, 0
	s_mov_b64 s[12:13], 0
                                        ; implicit-def: $sgpr14_sgpr15
                                        ; implicit-def: $sgpr16_sgpr17
	s_branch .LBB2_247
.LBB2_246:                              ;   in Loop: Header=BB2_247 Depth=1
	s_or_b64 exec, exec, s[22:23]
	s_and_b64 s[18:19], exec, s[20:21]
	s_or_b64 s[12:13], s[18:19], s[12:13]
	s_andn2_b64 s[14:15], s[14:15], exec
	s_and_b64 s[18:19], s[16:17], exec
	s_or_b64 s[14:15], s[14:15], s[18:19]
	s_andn2_b64 exec, exec, s[12:13]
	s_cbranch_execz .LBB2_251
.LBB2_247:                              ; =>This Inner Loop Header: Depth=1
	s_add_i32 s24, s24, 1
	s_cmpk_lg_i32 s24, 0x2710
	s_cselect_b64 s[18:19], -1, 0
	s_and_b64 vcc, exec, s[18:19]
                                        ; implicit-def: $sgpr22_sgpr23
	s_cbranch_vccnz .LBB2_249
; %bb.248:                              ;   in Loop: Header=BB2_247 Depth=1
	s_trap 2
	ds_read_b64 v[2:3], v0
	s_andn2_b64 s[18:19], s[18:19], exec
	s_mov_b32 s24, 0
	s_mov_b64 s[22:23], -1
	s_waitcnt lgkmcnt(0)
	flat_load_dword v2, v[2:3] glc
	s_waitcnt vmcnt(0) lgkmcnt(0)
	buffer_invl2
	buffer_wbinvl1_vol
	v_cmp_eq_u32_e32 vcc, 0, v2
	s_and_b64 s[20:21], vcc, exec
	s_or_b64 s[18:19], s[18:19], s[20:21]
.LBB2_249:                              ;   in Loop: Header=BB2_247 Depth=1
	s_andn2_b64 s[16:17], s[16:17], exec
	s_and_b64 s[22:23], s[22:23], exec
	s_mov_b64 s[20:21], -1
	s_or_b64 s[16:17], s[16:17], s[22:23]
	s_and_saveexec_b64 s[22:23], s[18:19]
	s_cbranch_execz .LBB2_246
; %bb.250:                              ;   in Loop: Header=BB2_247 Depth=1
	s_sleep 1
	s_trap 2
	ds_read_b64 v[2:3], v0
	s_andn2_b64 s[16:17], s[16:17], exec
	s_waitcnt lgkmcnt(0)
	v_cmp_ge_u64_e32 vcc, v[2:3], v[0:1]
	s_orn2_b64 s[20:21], vcc, exec
	s_branch .LBB2_246
.LBB2_251:
	s_or_b64 exec, exec, s[12:13]
	s_and_saveexec_b64 s[12:13], s[14:15]
	s_xor_b64 s[12:13], exec, s[12:13]
	s_cbranch_execz .LBB2_253
; %bb.252:
	v_mov_b32_e32 v0, 1
	ds_write_b32 v0, v0
	s_trap 2
.LBB2_253:
	s_or_b64 exec, exec, s[10:11]
	;;#ASMSTART
	s_wakeup
	;;#ASMEND
.LBB2_254:
	s_or_b64 exec, exec, s[8:9]
.LBB2_255:
	s_andn2_saveexec_b64 s[6:7], s[6:7]
	s_cbranch_execz .LBB2_257
; %bb.256:
	s_waitcnt vmcnt(0) lgkmcnt(0)
	buffer_wbinvl1_vol
	s_barrier
.LBB2_257:
	s_or_b64 exec, exec, s[4:5]
	buffer_load_dword a43, off, s[0:3], s32 ; 4-byte Folded Reload
	buffer_load_dword a42, off, s[0:3], s32 offset:4 ; 4-byte Folded Reload
	buffer_load_dword a40, off, s[0:3], s32 offset:8 ; 4-byte Folded Reload
	;; [unrolled: 1-line block ×25, first 2 shown]
	v_readlane_b32 s30, v63, 27
	v_readlane_b32 s31, v63, 28
	;; [unrolled: 1-line block ×29, first 2 shown]
	s_or_saveexec_b64 s[4:5], -1
	buffer_load_dword v63, off, s[0:3], s32 offset:104 ; 4-byte Folded Reload
	s_mov_b64 exec, s[4:5]
	s_waitcnt vmcnt(0) lgkmcnt(0)
	s_setpc_b64 s[30:31]
.Lfunc_end2:
	.size	_ZN12_GLOBAL__N_17runRingI12hip_bfloat168FuncProdIS1_E7ProtoLLLi0ELi2ELi0EEEviiP15ncclDevWorkColl, .Lfunc_end2-_ZN12_GLOBAL__N_17runRingI12hip_bfloat168FuncProdIS1_E7ProtoLLLi0ELi2ELi0EEEviiP15ncclDevWorkColl
                                        ; -- End function
	.section	.AMDGPU.csdata,"",@progbits
; Function info:
; codeLenInByte = 9268
; NumSgprs: 65
; NumVgprs: 64
; NumAgprs: 44
; TotalNumVgprs: 108
; ScratchSize: 112
; MemoryBound: 0
	.text
	.p2align	2                               ; -- Begin function _Z49ncclDevFunc_ReduceScatter_RING_LL_Prod_bf16_0_0_2v
	.type	_Z49ncclDevFunc_ReduceScatter_RING_LL_Prod_bf16_0_0_2v,@function
_Z49ncclDevFunc_ReduceScatter_RING_LL_Prod_bf16_0_0_2v: ; @_Z49ncclDevFunc_ReduceScatter_RING_LL_Prod_bf16_0_0_2v
; %bb.0:
	s_waitcnt vmcnt(0) expcnt(0) lgkmcnt(0)
	s_mov_b32 s4, s33
	s_mov_b32 s33, s32
	s_or_saveexec_b64 s[6:7], -1
	buffer_store_dword v43, off, s[0:3], s33 offset:16 ; 4-byte Folded Spill
	s_mov_b64 exec, s[6:7]
	v_writelane_b32 v43, s4, 37
	s_addk_i32 s32, 0x800
	buffer_store_dword v40, off, s[0:3], s33 offset:12 ; 4-byte Folded Spill
	buffer_store_dword v41, off, s[0:3], s33 offset:8 ; 4-byte Folded Spill
	;; [unrolled: 1-line block ×3, first 2 shown]
	buffer_store_dword v63, off, s[0:3], s33 ; 4-byte Folded Spill
	v_writelane_b32 v43, s34, 0
	v_writelane_b32 v43, s35, 1
	;; [unrolled: 1-line block ×37, first 2 shown]
	s_trap 2
	ds_read_b32 v0, v0
	v_mov_b32_e32 v40, v31
	s_mov_b32 s61, s12
	s_mov_b64 s[62:63], s[8:9]
	s_waitcnt lgkmcnt(0)
	v_cmp_gt_i32_e32 vcc, 1, v0
	s_cbranch_vccnz .LBB3_8
; %bb.1:
	s_mov_b32 s68, 0
	v_and_b32_e32 v41, 0x3ff, v40
	s_mov_b64 s[64:65], src_shared_base
	v_mov_b32_e32 v42, 6
	s_branch .LBB3_3
.LBB3_2:                                ;   in Loop: Header=BB3_3 Depth=1
	s_or_b64 exec, exec, s[66:67]
	s_trap 2
	ds_read_b32 v0, v0
	s_add_i32 s68, s68, 1
	s_waitcnt lgkmcnt(0)
	v_cmp_lt_i32_e32 vcc, s68, v0
	s_cbranch_vccz .LBB3_8
.LBB3_3:                                ; =>This Inner Loop Header: Depth=1
	s_trap 2
	ds_read_b32 v0, v0
	s_cmp_eq_u32 s68, 0
	s_cbranch_scc1 .LBB3_6
; %bb.4:                                ;   in Loop: Header=BB3_3 Depth=1
	s_trap 2
	s_waitcnt lgkmcnt(0)
	ds_read_b32 v1, v0
	s_waitcnt lgkmcnt(0)
	v_xor_b32_e32 v1, v1, v0
	v_and_b32_e32 v1, 0xff0000, v1
	v_cmp_eq_u32_e32 vcc, 0, v1
	s_cbranch_vccnz .LBB3_6
; %bb.5:                                ;   in Loop: Header=BB3_3 Depth=1
	s_barrier
	ds_read_b32 v0, v0
.LBB3_6:                                ;   in Loop: Header=BB3_3 Depth=1
	s_waitcnt lgkmcnt(0)
	v_lshlrev_b32_sdwa v1, v42, v0 dst_sel:DWORD dst_unused:UNUSED_PAD src0_sel:DWORD src1_sel:BYTE_2
	v_cmp_lt_u32_e32 vcc, v41, v1
	s_and_saveexec_b64 s[66:67], vcc
	s_cbranch_execz .LBB3_2
; %bb.7:                                ;   in Loop: Header=BB3_3 Depth=1
	s_mov_b64 s[8:9], s[62:63]
	s_mov_b32 s12, s61
	v_mov_b32_e32 v31, v40
	v_mov_b32_e32 v0, v41
	;; [unrolled: 1-line block ×3, first 2 shown]
	s_getpc_b64 s[4:5]
	s_add_u32 s4, s4, _ZN12_GLOBAL__N_17runRingI12hip_bfloat168FuncProdIS1_E7ProtoLLLi0ELi2ELi0EEEviiP15ncclDevWorkColl@rel32@lo+4
	s_addc_u32 s5, s5, _ZN12_GLOBAL__N_17runRingI12hip_bfloat168FuncProdIS1_E7ProtoLLLi0ELi2ELi0EEEviiP15ncclDevWorkColl@rel32@hi+12
	s_swappc_b64 s[30:31], s[4:5]
	s_branch .LBB3_2
.LBB3_8:
	buffer_load_dword v63, off, s[0:3], s33 ; 4-byte Folded Reload
	buffer_load_dword v42, off, s[0:3], s33 offset:4 ; 4-byte Folded Reload
	buffer_load_dword v41, off, s[0:3], s33 offset:8 ; 4-byte Folded Reload
	;; [unrolled: 1-line block ×3, first 2 shown]
	v_readlane_b32 s30, v43, 35
	v_readlane_b32 s31, v43, 36
	;; [unrolled: 1-line block ×38, first 2 shown]
	s_or_saveexec_b64 s[6:7], -1
	buffer_load_dword v43, off, s[0:3], s33 offset:16 ; 4-byte Folded Reload
	s_mov_b64 exec, s[6:7]
	s_addk_i32 s32, 0xf800
	s_mov_b32 s33, s4
	s_waitcnt vmcnt(0)
	s_setpc_b64 s[30:31]
.Lfunc_end3:
	.size	_Z49ncclDevFunc_ReduceScatter_RING_LL_Prod_bf16_0_0_2v, .Lfunc_end3-_Z49ncclDevFunc_ReduceScatter_RING_LL_Prod_bf16_0_0_2v
                                        ; -- End function
	.section	.AMDGPU.csdata,"",@progbits
; Function info:
; codeLenInByte = 972
; NumSgprs: 73
; NumVgprs: 64
; NumAgprs: 44
; TotalNumVgprs: 108
; ScratchSize: 144
; MemoryBound: 0
	.text
	.p2align	2                               ; -- Begin function _ZN12_GLOBAL__N_17runRingI12hip_bfloat168FuncProdIS1_E7ProtoLLLi0ELi4ELi0EEEviiP15ncclDevWorkColl
	.type	_ZN12_GLOBAL__N_17runRingI12hip_bfloat168FuncProdIS1_E7ProtoLLLi0ELi4ELi0EEEviiP15ncclDevWorkColl,@function
_ZN12_GLOBAL__N_17runRingI12hip_bfloat168FuncProdIS1_E7ProtoLLLi0ELi4ELi0EEEviiP15ncclDevWorkColl: ; @_ZN12_GLOBAL__N_17runRingI12hip_bfloat168FuncProdIS1_E7ProtoLLLi0ELi4ELi0EEEviiP15ncclDevWorkColl
; %bb.0:
	s_waitcnt vmcnt(0) expcnt(0) lgkmcnt(0)
	s_or_saveexec_b64 s[4:5], -1
	buffer_store_dword v63, off, s[0:3], s32 offset:104 ; 4-byte Folded Spill
	s_mov_b64 exec, s[4:5]
	buffer_store_dword v40, off, s[0:3], s32 offset:100 ; 4-byte Folded Spill
	buffer_store_dword v41, off, s[0:3], s32 offset:96 ; 4-byte Folded Spill
	;; [unrolled: 1-line block ×25, first 2 shown]
	buffer_store_dword a43, off, s[0:3], s32 ; 4-byte Folded Spill
	v_writelane_b32 v63, s34, 0
	v_writelane_b32 v63, s35, 1
	;; [unrolled: 1-line block ×29, first 2 shown]
	s_trap 2
	flat_load_dword v7, v[2:3]
	flat_load_dwordx4 v[12:15], v[2:3] offset:72
	flat_load_dwordx2 v[8:9], v[2:3] offset:88
	ds_read_b32 v5, v0
	ds_read_b64 v[22:23], v0
	v_mov_b32_e32 v24, v0
	v_mov_b32_e32 v20, v1
                                        ; implicit-def: $agpr4_agpr5
	s_waitcnt lgkmcnt(0)
	v_readfirstlane_b32 s22, v5
	s_waitcnt vmcnt(0)
	v_not_b32_sdwa v6, v7 dst_sel:DWORD dst_unused:UNUSED_PAD src0_sel:BYTE_0
	v_add_u32_sdwa v0, v7, v6 dst_sel:DWORD dst_unused:UNUSED_PAD src0_sel:BYTE_1 src1_sel:DWORD
	v_ashrrev_i32_e32 v1, 31, v0
	v_mul_lo_u32 v4, v15, v0
	v_mad_u64_u32 v[10:11], s[4:5], v14, v0, 0
	v_accvgpr_write_b32 a0, v12
	v_mul_lo_u32 v0, v14, v1
	v_accvgpr_write_b32 a1, v13
	v_accvgpr_write_b32 a2, v14
	;; [unrolled: 1-line block ×3, first 2 shown]
	v_add3_u32 v4, v11, v0, v4
	v_cmp_ne_u32_sdwa s[4:5], v7, v5 src0_sel:BYTE_0 src1_sel:DWORD
                                        ; implicit-def: $vgpr0_vgpr1
	s_and_saveexec_b64 s[6:7], s[4:5]
	s_xor_b64 s[4:5], exec, s[6:7]
	s_cbranch_execz .LBB4_6
; %bb.1:
	v_cmp_ne_u32_sdwa s[6:7], v7, v5 src0_sel:BYTE_1 src1_sel:DWORD
                                        ; implicit-def: $vgpr0_vgpr1
                                        ; implicit-def: $agpr4_agpr5
	s_and_saveexec_b64 s[10:11], s[6:7]
	s_xor_b64 s[6:7], exec, s[10:11]
	s_cbranch_execz .LBB4_3
; %bb.2:
	flat_load_dwordx2 v[0:1], v[2:3] offset:96
	v_add_u32_e32 v5, v5, v6
	v_accvgpr_read_b32 v15, a3
	v_ashrrev_i32_e32 v6, 31, v5
	v_accvgpr_read_b32 v14, a2
	v_accvgpr_read_b32 v13, a1
	;; [unrolled: 1-line block ×3, first 2 shown]
	v_mul_lo_u32 v6, v14, v6
	v_mul_lo_u32 v7, v15, v5
	v_mad_u64_u32 v[12:13], s[10:11], v14, v5, v[12:13]
	v_add3_u32 v13, v7, v13, v6
	v_accvgpr_write_b32 a4, v12
	v_accvgpr_write_b32 a5, v13
	s_waitcnt vmcnt(0) lgkmcnt(0)
	v_lshrrev_b64 v[0:1], 18, v[0:1]
.LBB4_3:
	s_andn2_saveexec_b64 s[6:7], s[6:7]
	s_cbranch_execz .LBB4_5
; %bb.4:
	flat_load_dword v0, v[2:3] offset:100
	v_accvgpr_read_b32 v13, a1
	v_accvgpr_read_b32 v12, a0
	v_add_co_u32_e32 v6, vcc, v10, v12
	v_addc_co_u32_e32 v7, vcc, v4, v13, vcc
	v_accvgpr_write_b32 a4, v6
	v_pk_mov_b32 v[14:15], v[8:9], v[8:9] op_sel:[0,1]
	v_accvgpr_write_b32 a0, v12
	v_accvgpr_write_b32 a5, v7
	;; [unrolled: 1-line block ×5, first 2 shown]
	s_waitcnt vmcnt(0) lgkmcnt(0)
	v_lshrrev_b32_e32 v0, 7, v0
.LBB4_5:
	s_or_b64 exec, exec, s[6:7]
.LBB4_6:
	s_andn2_saveexec_b64 s[4:5], s[4:5]
	s_cbranch_execz .LBB4_8
; %bb.7:
	flat_load_dwordx2 v[0:1], v[2:3] offset:96
	v_pk_mov_b32 v[6:7], 0, 0
	v_accvgpr_write_b32 a4, v6
	v_accvgpr_mov_b32 a3, a1
	v_accvgpr_write_b32 a5, v7
	v_accvgpr_mov_b32 a2, a0
	s_waitcnt vmcnt(0) lgkmcnt(0)
	v_lshlrev_b64 v[0:1], 3, v[0:1]
.LBB4_8:
	s_or_b64 exec, exec, s[4:5]
	flat_load_ushort v7, v[2:3] offset:8
	flat_load_dword v6, v[2:3] offset:4
	s_load_dword s4, s[8:9], 0x0
	flat_load_dwordx4 a[6:9], v[2:3] offset:16
	v_mov_b32_e32 v3, 0
	v_ashrrev_i32_e32 v25, 31, v24
	v_lshrrev_b32_e32 v1, 26, v25
	s_waitcnt lgkmcnt(0)
	s_cmp_lt_u32 s12, s4
	s_cselect_b32 s4, 12, 18
	s_add_u32 s4, s8, s4
	s_addc_u32 s5, s9, 0
	global_load_ushort v11, v3, s[4:5]
	s_trap 2
	ds_read_b32 v2, v0
	v_add_u32_e32 v1, v24, v1
	v_and_b32_e32 v1, 0xffffffc0, v1
	v_sub_u32_e32 v1, v24, v1
	s_mov_b32 s6, 0
	s_waitcnt lgkmcnt(0)
	v_cmp_gt_i32_e32 vcc, 0, v2
	v_readfirstlane_b32 s8, v2
	s_and_b64 vcc, exec, vcc
	v_pk_mov_b32 v[18:19], 0, 0
	v_cmp_eq_u32_e64 s[4:5], 0, v1
	s_waitcnt vmcnt(0)
	v_lshrrev_b64 v[6:7], 31, v[6:7]
	v_and_b32_e32 v5, 3, v6
	s_cbranch_vccnz .LBB4_10
; %bb.9:
	s_trap 2
	ds_read_b64 v[6:7], v0
	v_lshlrev_b64 v[2:3], 3, v[2:3]
	s_movk_i32 s6, 0xa8
	s_waitcnt lgkmcnt(0)
	v_add_co_u32_e32 v2, vcc, v6, v2
	v_addc_co_u32_e32 v3, vcc, v7, v3, vcc
	flat_load_dwordx2 v[2:3], v[2:3]
	v_and_b32_e32 v6, 0xffff, v5
	s_waitcnt vmcnt(0) lgkmcnt(0)
	v_mad_u64_u32 v[2:3], s[6:7], v6, s6, v[2:3]
	flat_load_dwordx2 a[14:15], v[2:3] offset:504
	flat_load_dwordx2 v[34:35], v[2:3] offset:608
	v_add_co_u32_e32 v2, vcc, 0x1f8, v2
	v_addc_co_u32_e32 v3, vcc, 0, v3, vcc
	v_cndmask_b32_e64 v27, 0, v3, s[4:5]
	v_cndmask_b32_e64 v26, 0, v2, s[4:5]
	s_mov_b32 s6, 1
	s_branch .LBB4_11
.LBB4_10:
	v_pk_mov_b32 v[26:27], v[18:19], v[18:19] op_sel:[0,1]
                                        ; implicit-def: $vgpr34_vgpr35
                                        ; implicit-def: $agpr14_agpr15
.LBB4_11:
	s_trap 2
	ds_read_b32 v2, v0
	s_waitcnt lgkmcnt(0)
	v_cmp_gt_i32_e32 vcc, 0, v2
	s_cbranch_vccnz .LBB4_13
; %bb.12:
	s_trap 2
	ds_read_b64 v[6:7], v0
	v_mov_b32_e32 v3, 0
	v_lshlrev_b64 v[2:3], 3, v[2:3]
	v_and_b32_e32 v5, 0xffff, v5
	s_movk_i32 s4, 0xa8
	s_waitcnt lgkmcnt(0)
	v_add_co_u32_e32 v2, vcc, v6, v2
	v_addc_co_u32_e32 v3, vcc, v7, v3, vcc
	flat_load_dwordx2 v[2:3], v[2:3]
	v_cmp_eq_u32_e32 vcc, 0, v1
	s_waitcnt vmcnt(0) lgkmcnt(0)
	v_mad_u64_u32 v[2:3], s[4:5], v5, s4, v[2:3]
	flat_load_dwordx2 v[36:37], v[2:3]
	flat_load_dwordx2 v[16:17], v[2:3] offset:104
	v_cndmask_b32_e32 v19, 0, v3, vcc
	v_cndmask_b32_e32 v18, 0, v2, vcc
	s_branch .LBB4_14
.LBB4_13:
                                        ; implicit-def: $vgpr16_vgpr17
                                        ; implicit-def: $vgpr36_vgpr37
.LBB4_14:
	v_subrev_u32_e32 v2, 64, v20
	v_pk_mov_b32 v[12:13], 0, 0
	v_cmp_le_i32_e32 vcc, v2, v24
	v_cmp_gt_i32_e64 s[4:5], s6, v1
	v_accvgpr_write_b32 a17, v13
	s_and_b64 s[24:25], vcc, s[4:5]
	v_accvgpr_write_b32 a16, v12
                                        ; implicit-def: $vgpr38_vgpr39
	s_and_saveexec_b64 s[4:5], s[24:25]
	s_cbranch_execz .LBB4_16
; %bb.15:
	flat_load_dwordx2 a[16:17], v[26:27] offset:56
	flat_load_dwordx2 v[38:39], v[26:27] offset:104
.LBB4_16:
	s_or_b64 exec, exec, s[4:5]
	v_cmp_gt_i32_e64 s[4:5], s6, v24
	v_pk_mov_b32 v[50:51], v[12:13], v[12:13] op_sel:[0,1]
                                        ; implicit-def: $vgpr52_vgpr53
	s_and_saveexec_b64 s[6:7], s[4:5]
	s_cbranch_execz .LBB4_18
; %bb.17:
	flat_load_dwordx2 v[50:51], v[18:19] offset:56
	s_waitcnt vmcnt(0) lgkmcnt(0)
	flat_load_dwordx2 v[52:53], v[50:51] glc
	s_waitcnt vmcnt(0)
	flat_load_dwordx4 v[12:15], v[18:19] offset:96
.LBB4_18:
	s_or_b64 exec, exec, s[6:7]
	v_accvgpr_read_b32 v47, a3
	v_accvgpr_read_b32 v46, a2
	;; [unrolled: 1-line block ×4, first 2 shown]
	v_cmp_ne_u64_e32 vcc, 0, v[46:47]
	v_pk_mov_b32 v[42:43], 0, 0
	s_and_saveexec_b64 s[26:27], vcc
	s_cbranch_execz .LBB4_234
; %bb.19:
	v_add_co_u32_e32 v1, vcc, v8, v44
	s_ashr_i32 s6, s8, 31
	v_addc_co_u32_e32 v2, vcc, v9, v45, vcc
	s_lshr_b32 s6, s6, 29
	v_add_co_u32_e32 v44, vcc, v1, v10
	s_ashr_i32 s23, s22, 31
	s_add_i32 s8, s8, s6
	v_addc_co_u32_e32 v45, vcc, v2, v4, vcc
	s_lshl_b64 s[6:7], s[22:23], 2
	v_mov_b32_e32 v1, s7
	v_add_co_u32_e32 v2, vcc, s6, v22
	v_addc_co_u32_e32 v1, vcc, v23, v1, vcc
	v_add_co_u32_e32 v2, vcc, -4, v2
	v_addc_co_u32_e32 v3, vcc, -1, v1, vcc
	v_mov_b32_e32 v41, 0
	v_accvgpr_write_b32 a19, v3
	v_and_b32_e32 v6, 0xfffff8, v0
	v_mov_b32_e32 v7, v41
	v_accvgpr_write_b32 a18, v2
	v_and_b32_e32 v1, 63, v31
	v_ashrrev_i32_e32 v21, 31, v20
	v_lshlrev_b32_e32 v2, 2, v24
	v_accvgpr_write_b32 a10, v18
	v_pk_mov_b32 v[8:9], v[6:7], v[6:7] op_sel:[0,1]
	v_cmp_eq_u32_e64 s[12:13], 0, v1
	v_lshrrev_b32_e32 v1, 26, v21
	v_ashrrev_i32_e32 v3, 31, v2
	v_accvgpr_read_b32 v4, a6
	v_accvgpr_write_b32 a11, v19
	v_add_u32_e32 v1, v20, v1
	v_lshlrev_b64 v[18:19], 1, v[2:3]
	v_accvgpr_read_b32 v6, a8
	v_ashrrev_i32_e32 v10, 6, v1
	v_accvgpr_write_b32 a22, v2
	v_accvgpr_read_b32 v7, a9
	v_add_co_u32_e32 v1, vcc, v6, v18
	s_waitcnt vmcnt(0) lgkmcnt(0)
	v_accvgpr_read_b32 v2, a16
	v_addc_co_u32_e32 v7, vcc, v7, v19, vcc
	v_accvgpr_read_b32 v3, a17
	v_accvgpr_read_b32 v5, a7
	v_cmp_ne_u64_e64 s[14:15], 0, v[2:3]
	v_add_co_u32_e32 v2, vcc, v4, v18
	v_accvgpr_write_b32 a26, v2
	v_addc_co_u32_e32 v2, vcc, v5, v19, vcc
	v_and_b32_e32 v40, 1, v4
	v_accvgpr_read_b32 v4, a4
	v_accvgpr_read_b32 v5, a5
	v_accvgpr_write_b32 a27, v2
	v_lshlrev_b64 v[2:3], 1, v[4:5]
	v_add_co_u32_e32 v2, vcc, v1, v2
	v_addc_co_u32_e32 v3, vcc, v7, v3, vcc
	v_accvgpr_write_b32 a21, v1
	v_accvgpr_write_b32 a29, v3
	v_lshlrev_b32_e32 v1, 1, v0
	v_accvgpr_write_b32 a28, v2
	v_and_b32_e32 v2, 0x1fffff0, v1
	v_lshlrev_b32_e32 v1, 1, v4
	v_lshlrev_b32_e32 v0, 4, v0
	v_accvgpr_write_b32 a0, v31
	v_lshl_add_u32 v1, v24, 3, v1
	v_and_b32_e32 v31, 0xfffff80, v0
	v_lshlrev_b32_e32 v0, 4, v44
	v_accvgpr_write_b32 a30, v2
	v_add_lshl_u32 v2, v1, v6, 3
	v_accvgpr_write_b32 a33, v0
	v_lshlrev_b64 v[0:1], 4, v[24:25]
	v_add_co_u32_e32 v0, vcc, v36, v0
	s_ashr_i32 s10, s8, 3
	v_accvgpr_write_b32 a35, v0
	v_addc_co_u32_e32 v0, vcc, v37, v1, vcc
	v_ashrrev_i32_e32 v1, 31, v10
	s_ashr_i32 s54, s8, 7
	s_and_b32 s23, s10, -16
	v_lshlrev_b32_e32 v58, 2, v20
	v_accvgpr_write_b32 a36, v0
	v_accvgpr_write_b32 a37, v1
	v_lshlrev_b64 v[0:1], 1, v[44:45]
	v_accvgpr_write_b32 a12, v26
	v_ashrrev_i32_e32 v59, 31, v58
	s_cmp_gt_i32 s22, 2
	v_accvgpr_write_b32 a25, v19
	v_accvgpr_write_b32 a39, v1
	v_pk_mov_b32 v[28:29], 0, 0
	v_accvgpr_write_b32 a13, v27
	s_mov_b64 s[28:29], 0
	v_cmp_ne_u64_e64 s[6:7], 0, v[50:51]
	v_cmp_ne_u64_e64 s[8:9], 0, v[12:13]
	v_cmp_ne_u32_e64 s[10:11], 64, v20
	v_accvgpr_write_b32 a1, v11
	v_cmp_ne_u32_sdwa s[30:31], v11, v20 src0_sel:WORD_0 src1_sel:DWORD
	s_cselect_b64 s[34:35], -1, 0
	v_accvgpr_write_b32 a24, v18
	v_cmp_eq_u64_e64 s[16:17], 0, v[40:41]
	v_accvgpr_write_b32 a23, v7
	v_accvgpr_write_b32 a32, v2
	v_lshlrev_b32_e32 v32, 6, v20
	s_movk_i32 s55, 0x2710
	s_mov_b64 s[36:37], 0x7ffffff8
	s_mov_b32 s56, 0x7f800000
	s_movk_i32 s57, 0x7fff
	s_mov_b32 s58, 0xffff0000
	v_mov_b32_e32 v62, 0
	v_accvgpr_write_b32 a20, v10
	v_accvgpr_write_b32 a38, v0
	v_lshlrev_b64 v[56:57], 1, v[58:59]
	v_lshlrev_b64 v[60:61], 4, v[20:21]
	v_pk_mov_b32 v[42:43], v[28:29], v[28:29] op_sel:[0,1]
	v_pk_mov_b32 v[4:5], v[46:47], v[46:47] op_sel:[0,1]
	s_branch .LBB4_21
.LBB4_20:                               ;   in Loop: Header=BB4_21 Depth=1
	s_or_b64 exec, exec, s[18:19]
	v_add_co_u32_e32 v34, vcc, 1, v34
	v_addc_co_u32_e32 v35, vcc, 0, v35, vcc
	v_add_co_u32_e32 v28, vcc, v28, v8
	v_addc_co_u32_e32 v29, vcc, 0, v29, vcc
	v_accvgpr_read_b32 v0, a28
	s_waitcnt vmcnt(0) lgkmcnt(0)
	v_accvgpr_read_b32 v2, a30
	v_accvgpr_read_b32 v1, a29
	v_add_co_u32_e32 v0, vcc, v0, v2
	v_addc_co_u32_e32 v1, vcc, 0, v1, vcc
	v_accvgpr_write_b32 a29, v1
	v_accvgpr_write_b32 a28, v0
	v_accvgpr_read_b32 v0, a32
	v_cmp_ge_u64_e32 vcc, v[28:29], v[4:5]
	v_add_u32_e32 v0, v0, v31
	s_or_b64 s[28:29], vcc, s[28:29]
	v_accvgpr_write_b32 a32, v0
	s_andn2_b64 exec, exec, s[28:29]
	s_cbranch_execz .LBB4_233
.LBB4_21:                               ; =>This Loop Header: Depth=1
                                        ;     Child Loop BB4_28 Depth 2
                                        ;     Child Loop BB4_45 Depth 2
	;; [unrolled: 1-line block ×5, first 2 shown]
                                        ;       Child Loop BB4_85 Depth 3
                                        ;       Child Loop BB4_101 Depth 3
	;; [unrolled: 1-line block ×3, first 2 shown]
                                        ;         Child Loop BB4_122 Depth 4
                                        ;       Child Loop BB4_154 Depth 3
                                        ;       Child Loop BB4_78 Depth 3
                                        ;     Child Loop BB4_169 Depth 2
                                        ;       Child Loop BB4_177 Depth 3
                                        ;     Child Loop BB4_220 Depth 2
	v_accvgpr_read_b32 v0, a18
	v_accvgpr_read_b32 v1, a19
	flat_load_dword v2, v[0:1]
	v_sub_co_u32_e32 v0, vcc, v4, v28
	v_subb_co_u32_e32 v1, vcc, v5, v29, vcc
	v_cmp_lt_u64_e32 vcc, v[8:9], v[0:1]
	v_cndmask_b32_e32 v3, v0, v8, vcc
	v_lshl_add_u32 v0, v3, 2, 12
	v_and_b32_e32 v0, 0x7fffff0, v0
	v_accvgpr_write_b32 a40, v0
	s_and_saveexec_b64 s[18:19], s[6:7]
	s_cbranch_execz .LBB4_37
; %bb.22:                               ;   in Loop: Header=BB4_21 Depth=1
	v_add_co_u32_e32 v0, vcc, 1, v14
	v_addc_co_u32_e32 v1, vcc, 0, v15, vcc
	v_add_co_u32_e32 v4, vcc, 8, v52
	v_addc_co_u32_e32 v5, vcc, 0, v53, vcc
	v_cmp_lt_u64_e32 vcc, v[4:5], v[0:1]
	s_and_saveexec_b64 s[20:21], vcc
	s_cbranch_execz .LBB4_34
; %bb.23:                               ;   in Loop: Header=BB4_21 Depth=1
	s_sleep 1
	flat_load_dwordx2 v[52:53], v[50:51] glc
	v_cmp_eq_u32_e32 vcc, 0, v62
	s_and_saveexec_b64 s[38:39], vcc
	s_cbranch_execz .LBB4_33
; %bb.24:                               ;   in Loop: Header=BB4_21 Depth=1
	v_cndmask_b32_e64 v4, 0, 1, vcc
	s_mov_b64 s[40:41], 0
                                        ; implicit-def: $sgpr42_sgpr43
	s_branch .LBB4_28
.LBB4_25:                               ;   in Loop: Header=BB4_28 Depth=2
	s_or_b64 exec, exec, s[50:51]
	s_orn2_b64 s[48:49], s[48:49], exec
.LBB4_26:                               ;   in Loop: Header=BB4_28 Depth=2
	s_or_b64 exec, exec, s[46:47]
	s_xor_b64 vcc, s[48:49], -1
	s_andn2_b64 s[42:43], s[42:43], exec
	s_and_b64 vcc, vcc, exec
	s_or_b64 s[42:43], s[42:43], vcc
.LBB4_27:                               ;   in Loop: Header=BB4_28 Depth=2
	s_or_b64 exec, exec, s[44:45]
	s_and_b64 vcc, exec, s[42:43]
	s_or_b64 s[40:41], vcc, s[40:41]
	s_andn2_b64 exec, exec, s[40:41]
	s_cbranch_execz .LBB4_32
.LBB4_28:                               ;   Parent Loop BB4_21 Depth=1
                                        ; =>  This Inner Loop Header: Depth=2
	s_waitcnt vmcnt(0) lgkmcnt(0)
	v_add_co_u32_e32 v6, vcc, 8, v52
	v_addc_co_u32_e32 v7, vcc, 0, v53, vcc
	v_cmp_lt_u64_e32 vcc, v[6:7], v[0:1]
	v_mov_b32_e32 v62, 0
	s_or_b64 s[42:43], s[42:43], exec
	s_and_saveexec_b64 s[44:45], vcc
	s_cbranch_execz .LBB4_27
; %bb.29:                               ;   in Loop: Header=BB4_28 Depth=2
	s_sleep 1
	flat_load_dwordx2 v[52:53], v[50:51] glc
	v_add_u32_e32 v4, 1, v4
	v_cmp_eq_u32_e32 vcc, s55, v4
	s_mov_b64 s[48:49], -1
	v_mov_b32_e32 v62, 0
	s_and_saveexec_b64 s[46:47], vcc
	s_cbranch_execz .LBB4_26
; %bb.30:                               ;   in Loop: Header=BB4_28 Depth=2
	s_trap 2
	ds_read_b64 v[4:5], v0
	v_mov_b32_e32 v62, 0
	s_waitcnt vmcnt(0) lgkmcnt(0)
	flat_load_dword v5, v[4:5] glc
	s_waitcnt vmcnt(0) lgkmcnt(0)
	buffer_invl2
	buffer_wbinvl1_vol
	v_mov_b32_e32 v4, 0
	v_cmp_ne_u32_e32 vcc, 0, v5
	s_and_saveexec_b64 s[50:51], vcc
	s_cbranch_execz .LBB4_25
; %bb.31:                               ;   in Loop: Header=BB4_28 Depth=2
	v_mov_b32_e32 v62, 1
	s_xor_b64 s[48:49], exec, -1
	ds_write_b32 v0, v5
	s_trap 2
	s_branch .LBB4_25
.LBB4_32:                               ;   in Loop: Header=BB4_21 Depth=1
	s_or_b64 exec, exec, s[40:41]
.LBB4_33:                               ;   in Loop: Header=BB4_21 Depth=1
	s_or_b64 exec, exec, s[38:39]
.LBB4_34:                               ;   in Loop: Header=BB4_21 Depth=1
	s_or_b64 exec, exec, s[20:21]
	s_and_saveexec_b64 s[20:21], s[8:9]
	s_cbranch_execz .LBB4_36
; %bb.35:                               ;   in Loop: Header=BB4_21 Depth=1
	v_and_b32_e32 v40, 0x7ffffff8, v14
	v_mov_b32_e32 v4, s23
	v_cmp_eq_u64_e32 vcc, s[36:37], v[40:41]
	v_accvgpr_read_b32 v5, a40
	v_cndmask_b32_e32 v4, v5, v4, vcc
	v_and_b32_e32 v6, 7, v14
	v_ashrrev_i32_e32 v5, 31, v4
	v_mad_u64_u32 v[6:7], vcc, v6, 24, v[12:13]
	flat_store_dwordx2 v[6:7], v[4:5] offset:8
	s_waitcnt vmcnt(0)
.LBB4_36:                               ;   in Loop: Header=BB4_21 Depth=1
	s_or_b64 exec, exec, s[20:21]
	v_pk_mov_b32 v[14:15], v[0:1], v[0:1] op_sel:[0,1]
.LBB4_37:                               ;   in Loop: Header=BB4_21 Depth=1
	s_or_b64 exec, exec, s[18:19]
	s_and_saveexec_b64 s[18:19], s[10:11]
	s_cbranch_execz .LBB4_56
; %bb.38:                               ;   in Loop: Header=BB4_21 Depth=1
	s_and_saveexec_b64 s[20:21], s[30:31]
	s_xor_b64 s[20:21], exec, s[20:21]
	s_cbranch_execz .LBB4_53
; %bb.39:                               ;   in Loop: Header=BB4_21 Depth=1
	s_and_saveexec_b64 s[38:39], s[12:13]
	s_cbranch_execz .LBB4_52
; %bb.40:                               ;   in Loop: Header=BB4_21 Depth=1
	s_mov_b64 s[42:43], exec
	v_mbcnt_lo_u32_b32 v0, s42, 0
	v_mbcnt_hi_u32_b32 v0, s43, v0
	v_cmp_eq_u32_e32 vcc, 0, v0
	s_waitcnt vmcnt(0) lgkmcnt(0)
	buffer_wbinvl1_vol
	s_and_saveexec_b64 s[40:41], vcc
	s_cbranch_execz .LBB4_42
; %bb.41:                               ;   in Loop: Header=BB4_21 Depth=1
	s_bcnt1_i32_b64 vcc_lo, s[42:43]
	v_mov_b32_e32 v40, vcc_lo
	ds_add_u64 v0, v[40:41]
	s_trap 2
.LBB4_42:                               ;   in Loop: Header=BB4_21 Depth=1
	s_or_b64 exec, exec, s[40:41]
	s_trap 2
	ds_read_b64 v[0:1], v0
	v_accvgpr_read_b32 v4, a20
	v_add_co_u32_e32 v42, vcc, v42, v4
	v_accvgpr_read_b32 v5, a37
	v_addc_co_u32_e32 v43, vcc, v43, v5, vcc
	s_waitcnt lgkmcnt(0)
	v_cmp_lt_u64_e32 vcc, v[0:1], v[42:43]
	s_and_saveexec_b64 s[40:41], vcc
	s_cbranch_execz .LBB4_51
; %bb.43:                               ;   in Loop: Header=BB4_21 Depth=1
	s_mov_b32 s52, 0
	s_mov_b64 s[42:43], 0
                                        ; implicit-def: $sgpr44_sgpr45
                                        ; implicit-def: $sgpr46_sgpr47
	s_branch .LBB4_45
.LBB4_44:                               ;   in Loop: Header=BB4_45 Depth=2
	s_or_b64 exec, exec, s[50:51]
	s_and_b64 vcc, exec, vcc
	s_or_b64 s[42:43], vcc, s[42:43]
	s_andn2_b64 vcc, s[44:45], exec
	s_and_b64 s[44:45], s[46:47], exec
	s_or_b64 s[44:45], vcc, s[44:45]
	s_andn2_b64 exec, exec, s[42:43]
	s_cbranch_execz .LBB4_49
.LBB4_45:                               ;   Parent Loop BB4_21 Depth=1
                                        ; =>  This Inner Loop Header: Depth=2
	s_add_i32 s52, s52, 1
	s_cmpk_lg_i32 s52, 0x2710
	s_cselect_b64 s[48:49], -1, 0
	s_and_b64 vcc, exec, s[48:49]
                                        ; implicit-def: $sgpr50_sgpr51
	s_cbranch_vccnz .LBB4_47
; %bb.46:                               ;   in Loop: Header=BB4_45 Depth=2
	s_trap 2
	ds_read_b64 v[0:1], v0
	s_andn2_b64 s[48:49], s[48:49], exec
	s_mov_b32 s52, 0
	s_mov_b64 s[50:51], -1
	s_waitcnt lgkmcnt(0)
	flat_load_dword v0, v[0:1] glc
	s_waitcnt vmcnt(0) lgkmcnt(0)
	buffer_invl2
	buffer_wbinvl1_vol
	v_cmp_eq_u32_e32 vcc, 0, v0
	s_and_b64 vcc, vcc, exec
	s_or_b64 s[48:49], s[48:49], vcc
.LBB4_47:                               ;   in Loop: Header=BB4_45 Depth=2
	s_andn2_b64 s[46:47], s[46:47], exec
	s_and_b64 s[50:51], s[50:51], exec
	s_mov_b64 vcc, -1
	s_or_b64 s[46:47], s[46:47], s[50:51]
	s_and_saveexec_b64 s[50:51], s[48:49]
	s_cbranch_execz .LBB4_44
; %bb.48:                               ;   in Loop: Header=BB4_45 Depth=2
	s_sleep 1
	s_trap 2
	ds_read_b64 v[0:1], v0
	s_andn2_b64 s[46:47], s[46:47], exec
	s_waitcnt lgkmcnt(0)
	v_cmp_ge_u64_e32 vcc, v[0:1], v[42:43]
	s_orn2_b64 vcc, vcc, exec
	s_branch .LBB4_44
.LBB4_49:                               ;   in Loop: Header=BB4_21 Depth=1
	s_or_b64 exec, exec, s[42:43]
	s_and_saveexec_b64 vcc, s[44:45]
	s_xor_b64 vcc, exec, vcc
	s_cbranch_execz .LBB4_51
; %bb.50:                               ;   in Loop: Header=BB4_21 Depth=1
	v_mov_b32_e32 v0, 1
	ds_write_b32 v0, v0
	s_trap 2
.LBB4_51:                               ;   in Loop: Header=BB4_21 Depth=1
	s_or_b64 exec, exec, s[40:41]
	;;#ASMSTART
	s_wakeup
	;;#ASMEND
.LBB4_52:                               ;   in Loop: Header=BB4_21 Depth=1
	s_or_b64 exec, exec, s[38:39]
.LBB4_53:                               ;   in Loop: Header=BB4_21 Depth=1
	s_andn2_saveexec_b64 s[20:21], s[20:21]
	s_cbranch_execz .LBB4_55
; %bb.54:                               ;   in Loop: Header=BB4_21 Depth=1
	s_waitcnt vmcnt(0) lgkmcnt(0)
	buffer_wbinvl1_vol
	s_barrier
.LBB4_55:                               ;   in Loop: Header=BB4_21 Depth=1
	s_or_b64 exec, exec, s[20:21]
.LBB4_56:                               ;   in Loop: Header=BB4_21 Depth=1
	s_or_b64 exec, exec, s[18:19]
	v_accvgpr_read_b32 v0, a22
	v_accvgpr_write_b32 a6, v8
	v_sub_u32_e32 v48, v3, v0
	v_accvgpr_write_b32 a7, v9
	v_cmp_lt_i32_e64 s[18:19], 0, v48
	v_and_b32_e32 v1, 7, v16
	v_mov_b32_e32 v0, v24
	s_and_saveexec_b64 s[20:21], s[18:19]
	s_cbranch_execz .LBB4_64
; %bb.57:                               ;   in Loop: Header=BB4_21 Depth=1
	v_accvgpr_read_b32 v8, a28
	v_accvgpr_read_b32 v18, a38
	s_waitcnt vmcnt(0) lgkmcnt(0)
	v_ashrrev_i32_e32 v0, 31, v2
	v_mov_b32_e32 v3, v16
	v_add_co_u32_e64 v6, vcc, 0, 0
	v_accvgpr_read_b32 v9, a29
	v_accvgpr_read_b32 v19, a39
	v_mul_lo_u32 v4, v1, s54
	v_addc_co_u32_e32 v3, vcc, 1, v3, vcc
	v_mad_u64_u32 v[10:11], vcc, v18, v2, v[8:9]
	v_mul_lo_u32 v7, v19, v2
	v_mul_lo_u32 v0, v18, v0
	v_ashrrev_i32_e32 v5, 31, v4
	v_add3_u32 v11, v7, v11, v0
	v_accvgpr_read_b32 v0, a32
	v_accvgpr_read_b32 v7, a33
	v_mad_u64_u32 v[18:19], vcc, v7, v2, v[0:1]
	v_lshlrev_b64 v[4:5], 4, v[4:5]
	v_accvgpr_read_b32 v0, a35
	v_add_co_u32_e32 v54, vcc, v0, v4
	v_accvgpr_read_b32 v0, a36
	v_addc_co_u32_e32 v55, vcc, v0, v5, vcc
	s_mov_b64 s[38:39], 0
	v_mov_b32_e32 v7, v48
	v_mov_b32_e32 v0, v24
	s_branch .LBB4_59
.LBB4_58:                               ;   in Loop: Header=BB4_59 Depth=2
	s_or_b64 exec, exec, s[40:41]
	v_add_co_u32_e32 v10, vcc, v10, v56
	s_waitcnt vmcnt(0)
	v_alignbit_b32 v2, v9, v2, v18
	v_alignbit_b32 v4, v8, v9, v18
	v_sub_u32_e32 v7, v7, v58
	v_addc_co_u32_e32 v11, vcc, v11, v57, vcc
	v_or_b32_e32 v2, v6, v2
	v_or_b32_e32 v4, v6, v4
	v_mov_b32_e32 v5, v3
	v_cmp_gt_i32_e32 vcc, 1, v7
	global_store_dwordx4 v[54:55], v[2:5], off
	s_or_b64 s[38:39], vcc, s[38:39]
	v_add_co_u32_e32 v54, vcc, v54, v60
	v_add_u32_e32 v0, v0, v20
	v_add_u32_e32 v18, v18, v32
	v_addc_co_u32_e32 v55, vcc, v55, v61, vcc
	s_andn2_b64 exec, exec, s[38:39]
	s_cbranch_execz .LBB4_63
.LBB4_59:                               ;   Parent Loop BB4_21 Depth=1
                                        ; =>  This Inner Loop Header: Depth=2
	v_and_b32_e32 v4, -4, v10
	v_mov_b32_e32 v5, v11
	global_load_dword v2, v[4:5], off glc slc
	v_min_u32_e32 v9, 4, v7
	v_and_b32_e32 v19, 3, v10
	v_lshlrev_b32_e32 v9, 1, v9
	v_add_co_u32_e32 v46, vcc, v19, v9
	v_addc_co_u32_e64 v47, vcc, 0, 0, vcc
	v_mov_b32_e32 v8, 0
	v_cmp_lt_u64_e32 vcc, 4, v[46:47]
	v_mov_b32_e32 v9, 0
	s_and_saveexec_b64 s[40:41], vcc
	s_cbranch_execz .LBB4_61
; %bb.60:                               ;   in Loop: Header=BB4_59 Depth=2
	global_load_dword v9, v[4:5], off offset:4 glc slc
.LBB4_61:                               ;   in Loop: Header=BB4_59 Depth=2
	s_or_b64 exec, exec, s[40:41]
	v_cmp_lt_u64_e32 vcc, 8, v[46:47]
	s_and_saveexec_b64 s[40:41], vcc
	s_cbranch_execz .LBB4_58
; %bb.62:                               ;   in Loop: Header=BB4_59 Depth=2
	global_load_dword v8, v[4:5], off offset:8 glc slc
	s_branch .LBB4_58
.LBB4_63:                               ;   in Loop: Header=BB4_21 Depth=1
	s_or_b64 exec, exec, s[38:39]
.LBB4_64:                               ;   in Loop: Header=BB4_21 Depth=1
	s_or_b64 exec, exec, s[20:21]
	v_and_b32_e32 v40, 0x7ffffff8, v16
	v_cmp_eq_u64_e32 vcc, s[36:37], v[40:41]
	v_cmp_gt_i32_e64 s[20:21], s54, v0
	s_and_b64 s[20:21], vcc, s[20:21]
	s_and_saveexec_b64 s[38:39], s[20:21]
	s_cbranch_execz .LBB4_67
; %bb.65:                               ;   in Loop: Header=BB4_21 Depth=1
	v_mul_lo_u32 v4, v1, s54
	v_mov_b32_e32 v1, v16
	s_waitcnt vmcnt(0) lgkmcnt(0)
	v_add_co_u32_e64 v2, vcc, 0, 0
	v_ashrrev_i32_e32 v5, 31, v4
	v_addc_co_u32_e32 v3, vcc, 1, v1, vcc
	v_ashrrev_i32_e32 v1, 31, v0
	v_lshlrev_b64 v[6:7], 4, v[0:1]
	v_lshlrev_b64 v[4:5], 4, v[4:5]
	v_add_co_u32_e32 v1, vcc, v6, v4
	v_addc_co_u32_e32 v4, vcc, v7, v5, vcc
	v_add_co_u32_e32 v10, vcc, v36, v1
	v_addc_co_u32_e32 v11, vcc, v37, v4, vcc
	s_mov_b64 s[40:41], 0
.LBB4_66:                               ;   Parent Loop BB4_21 Depth=1
                                        ; =>  This Inner Loop Header: Depth=2
	v_mov_b32_e32 v4, v2
	v_mov_b32_e32 v5, v3
	v_add_u32_e32 v0, v0, v20
	global_store_dwordx4 v[10:11], v[2:5], off
	v_cmp_le_i32_e32 vcc, s54, v0
	v_add_co_u32_e64 v10, s[20:21], v10, v60
	s_or_b64 s[40:41], vcc, s[40:41]
	v_addc_co_u32_e64 v11, vcc, v11, v61, s[20:21]
	s_andn2_b64 exec, exec, s[40:41]
	s_cbranch_execnz .LBB4_66
.LBB4_67:                               ;   in Loop: Header=BB4_21 Depth=1
	s_or_b64 exec, exec, s[38:39]
	v_accvgpr_read_b32 v0, a4
	v_accvgpr_read_b32 v1, a5
	v_add_co_u32_e32 v0, vcc, v28, v0
	v_addc_co_u32_e32 v1, vcc, v29, v1, vcc
	v_add_co_u32_e32 v10, vcc, 1, v16
	v_addc_co_u32_e32 v11, vcc, 0, v17, vcc
	s_andn2_b64 vcc, exec, s[34:35]
	v_lshlrev_b64 v[6:7], 1, v[0:1]
	s_cbranch_vccnz .LBB4_165
; %bb.68:                               ;   in Loop: Header=BB4_21 Depth=1
	v_accvgpr_read_b32 v0, a21
	v_add_co_u32_e32 v30, vcc, v0, v6
	v_accvgpr_read_b32 v0, a23
	v_accvgpr_write_b32 a43, v7
	v_accvgpr_write_b32 a31, v31
	v_accvgpr_write_b32 a42, v6
	v_addc_co_u32_e32 v31, vcc, v0, v7, vcc
	v_add_u16_e32 v6, 1, v16
	s_mov_b32 s59, 2
	s_branch .LBB4_70
.LBB4_69:                               ;   in Loop: Header=BB4_70 Depth=2
	s_or_b64 exec, exec, s[38:39]
	v_add_co_u32_e32 v34, vcc, 1, v34
	v_addc_co_u32_e32 v35, vcc, 0, v35, vcc
	s_add_i32 s59, s59, 1
	v_add_co_u32_e32 v10, vcc, 1, v10
	v_addc_co_u32_e32 v11, vcc, 0, v11, vcc
	s_cmp_eq_u32 s59, s22
	v_add_u16_e32 v6, 1, v6
	s_cbranch_scc1 .LBB4_166
.LBB4_70:                               ;   Parent Loop BB4_21 Depth=1
                                        ; =>  This Loop Header: Depth=2
                                        ;       Child Loop BB4_85 Depth 3
                                        ;       Child Loop BB4_101 Depth 3
	;; [unrolled: 1-line block ×3, first 2 shown]
                                        ;         Child Loop BB4_122 Depth 4
                                        ;       Child Loop BB4_154 Depth 3
                                        ;       Child Loop BB4_78 Depth 3
	s_sub_i32 s20, s22, s59
	s_ashr_i32 s21, s20, 31
	s_lshl_b64 s[20:21], s[20:21], 2
	v_mov_b32_e32 v1, s21
	v_add_co_u32_e32 v0, vcc, s20, v22
	v_addc_co_u32_e32 v1, vcc, v23, v1, vcc
	s_waitcnt vmcnt(0) lgkmcnt(0)
	flat_load_dword v2, v[0:1]
	s_and_saveexec_b64 s[20:21], s[6:7]
	s_cbranch_execnz .LBB4_79
; %bb.71:                               ;   in Loop: Header=BB4_70 Depth=2
	s_or_b64 exec, exec, s[20:21]
	s_and_saveexec_b64 s[20:21], s[10:11]
	s_cbranch_execnz .LBB4_94
.LBB4_72:                               ;   in Loop: Header=BB4_70 Depth=2
	s_or_b64 exec, exec, s[20:21]
	v_mov_b32_e32 v0, v24
	s_and_saveexec_b64 s[38:39], s[18:19]
	s_cbranch_execnz .LBB4_112
.LBB4_73:                               ;   in Loop: Header=BB4_70 Depth=2
	s_or_b64 exec, exec, s[38:39]
	s_and_saveexec_b64 s[20:21], s[10:11]
	s_cbranch_execnz .LBB4_147
.LBB4_74:                               ;   in Loop: Header=BB4_70 Depth=2
	s_or_b64 exec, exec, s[20:21]
	s_and_saveexec_b64 s[20:21], s[14:15]
	s_cbranch_execz .LBB4_76
.LBB4_75:                               ;   in Loop: Header=BB4_70 Depth=2
	v_add_co_u32_e32 v38, vcc, 1, v38
	s_waitcnt vmcnt(0) lgkmcnt(0)
	v_accvgpr_read_b32 v2, a16
	v_addc_co_u32_e32 v39, vcc, 0, v39, vcc
	v_accvgpr_read_b32 v3, a17
	flat_store_dwordx2 v[2:3], v[38:39]
.LBB4_76:                               ;   in Loop: Header=BB4_70 Depth=2
	s_or_b64 exec, exec, s[20:21]
	v_and_b32_e32 v40, 0x7ffffff8, v10
	v_cmp_eq_u64_e32 vcc, s[36:37], v[40:41]
	v_cmp_gt_i32_e64 s[20:21], s54, v0
	s_and_b64 s[20:21], vcc, s[20:21]
	s_and_saveexec_b64 s[38:39], s[20:21]
	s_cbranch_execz .LBB4_69
; %bb.77:                               ;   in Loop: Header=BB4_70 Depth=2
	v_and_b32_e32 v1, 7, v6
	s_waitcnt vmcnt(0) lgkmcnt(0)
	v_mul_lo_u32 v2, s54, v1
	v_ashrrev_i32_e32 v3, 31, v2
	v_lshlrev_b64 v[4:5], 4, v[2:3]
	v_mov_b32_e32 v1, v10
	v_add_co_u32_e64 v2, vcc, 0, 0
	v_addc_co_u32_e32 v3, vcc, 1, v1, vcc
	v_ashrrev_i32_e32 v1, 31, v0
	v_lshlrev_b64 v[8:9], 4, v[0:1]
	v_add_co_u32_e32 v1, vcc, v8, v4
	v_addc_co_u32_e32 v4, vcc, v9, v5, vcc
	v_add_co_u32_e32 v16, vcc, v36, v1
	v_addc_co_u32_e32 v17, vcc, v37, v4, vcc
	s_mov_b64 s[40:41], 0
.LBB4_78:                               ;   Parent Loop BB4_21 Depth=1
                                        ;     Parent Loop BB4_70 Depth=2
                                        ; =>    This Inner Loop Header: Depth=3
	v_mov_b32_e32 v4, v2
	v_mov_b32_e32 v5, v3
	v_add_u32_e32 v0, v0, v20
	global_store_dwordx4 v[16:17], v[2:5], off
	v_cmp_le_i32_e32 vcc, s54, v0
	v_add_co_u32_e64 v16, s[20:21], v16, v60
	s_or_b64 s[40:41], vcc, s[40:41]
	v_addc_co_u32_e64 v17, vcc, v17, v61, s[20:21]
	s_andn2_b64 exec, exec, s[40:41]
	s_cbranch_execnz .LBB4_78
	s_branch .LBB4_69
.LBB4_79:                               ;   in Loop: Header=BB4_70 Depth=2
	v_add_co_u32_e32 v0, vcc, 1, v14
	v_addc_co_u32_e32 v1, vcc, 0, v15, vcc
	v_add_co_u32_e32 v4, vcc, 8, v52
	v_addc_co_u32_e32 v5, vcc, 0, v53, vcc
	v_cmp_lt_u64_e32 vcc, v[4:5], v[0:1]
	s_and_saveexec_b64 s[38:39], vcc
	s_cbranch_execz .LBB4_91
; %bb.80:                               ;   in Loop: Header=BB4_70 Depth=2
	s_sleep 1
	flat_load_dwordx2 v[52:53], v[50:51] glc
	v_cmp_eq_u32_e32 vcc, 0, v62
	s_and_saveexec_b64 s[40:41], vcc
	s_cbranch_execz .LBB4_90
; %bb.81:                               ;   in Loop: Header=BB4_70 Depth=2
	v_cndmask_b32_e64 v3, 0, 1, vcc
	s_mov_b64 s[42:43], 0
                                        ; implicit-def: $sgpr44_sgpr45
	s_branch .LBB4_85
.LBB4_82:                               ;   in Loop: Header=BB4_85 Depth=3
	s_or_b64 exec, exec, s[52:53]
	s_orn2_b64 s[50:51], s[50:51], exec
.LBB4_83:                               ;   in Loop: Header=BB4_85 Depth=3
	s_or_b64 exec, exec, s[48:49]
	s_xor_b64 vcc, s[50:51], -1
	s_andn2_b64 s[44:45], s[44:45], exec
	s_and_b64 vcc, vcc, exec
	s_or_b64 s[44:45], s[44:45], vcc
.LBB4_84:                               ;   in Loop: Header=BB4_85 Depth=3
	s_or_b64 exec, exec, s[46:47]
	s_and_b64 vcc, exec, s[44:45]
	s_or_b64 s[42:43], vcc, s[42:43]
	s_andn2_b64 exec, exec, s[42:43]
	s_cbranch_execz .LBB4_89
.LBB4_85:                               ;   Parent Loop BB4_21 Depth=1
                                        ;     Parent Loop BB4_70 Depth=2
                                        ; =>    This Inner Loop Header: Depth=3
	s_waitcnt vmcnt(0) lgkmcnt(0)
	v_add_co_u32_e32 v4, vcc, 8, v52
	v_addc_co_u32_e32 v5, vcc, 0, v53, vcc
	v_cmp_lt_u64_e32 vcc, v[4:5], v[0:1]
	v_mov_b32_e32 v62, 0
	s_or_b64 s[44:45], s[44:45], exec
	s_and_saveexec_b64 s[46:47], vcc
	s_cbranch_execz .LBB4_84
; %bb.86:                               ;   in Loop: Header=BB4_85 Depth=3
	s_sleep 1
	flat_load_dwordx2 v[52:53], v[50:51] glc
	v_add_u32_e32 v3, 1, v3
	v_cmp_eq_u32_e32 vcc, s55, v3
	s_mov_b64 s[50:51], -1
	v_mov_b32_e32 v62, 0
	s_and_saveexec_b64 s[48:49], vcc
	s_cbranch_execz .LBB4_83
; %bb.87:                               ;   in Loop: Header=BB4_85 Depth=3
	s_trap 2
	ds_read_b64 v[4:5], v0
	v_mov_b32_e32 v3, 0
	v_mov_b32_e32 v62, 0
	s_waitcnt vmcnt(0) lgkmcnt(0)
	flat_load_dword v4, v[4:5] glc
	s_waitcnt vmcnt(0) lgkmcnt(0)
	buffer_invl2
	buffer_wbinvl1_vol
	v_cmp_ne_u32_e32 vcc, 0, v4
	s_and_saveexec_b64 s[52:53], vcc
	s_cbranch_execz .LBB4_82
; %bb.88:                               ;   in Loop: Header=BB4_85 Depth=3
	v_mov_b32_e32 v62, 1
	s_xor_b64 s[50:51], exec, -1
	ds_write_b32 v0, v4
	s_trap 2
	s_branch .LBB4_82
.LBB4_89:                               ;   in Loop: Header=BB4_70 Depth=2
	s_or_b64 exec, exec, s[42:43]
.LBB4_90:                               ;   in Loop: Header=BB4_70 Depth=2
	s_or_b64 exec, exec, s[40:41]
.LBB4_91:                               ;   in Loop: Header=BB4_70 Depth=2
	s_or_b64 exec, exec, s[38:39]
	s_and_saveexec_b64 s[38:39], s[8:9]
	s_cbranch_execz .LBB4_93
; %bb.92:                               ;   in Loop: Header=BB4_70 Depth=2
	v_and_b32_e32 v40, 0x7ffffff8, v14
	v_mov_b32_e32 v3, s23
	v_cmp_eq_u64_e32 vcc, s[36:37], v[40:41]
	v_accvgpr_read_b32 v4, a40
	v_cndmask_b32_e32 v4, v4, v3, vcc
	v_and_b32_e32 v3, 7, v14
	v_ashrrev_i32_e32 v5, 31, v4
	v_mad_u64_u32 v[8:9], vcc, v3, 24, v[12:13]
	flat_store_dwordx2 v[8:9], v[4:5] offset:8
	s_waitcnt vmcnt(0)
.LBB4_93:                               ;   in Loop: Header=BB4_70 Depth=2
	s_or_b64 exec, exec, s[38:39]
	v_pk_mov_b32 v[14:15], v[0:1], v[0:1] op_sel:[0,1]
	s_or_b64 exec, exec, s[20:21]
	s_and_saveexec_b64 s[20:21], s[10:11]
	s_cbranch_execz .LBB4_72
.LBB4_94:                               ;   in Loop: Header=BB4_70 Depth=2
	s_and_saveexec_b64 vcc, s[30:31]
	s_xor_b64 s[38:39], exec, vcc
	s_cbranch_execz .LBB4_109
; %bb.95:                               ;   in Loop: Header=BB4_70 Depth=2
	s_and_saveexec_b64 s[40:41], s[12:13]
	s_cbranch_execz .LBB4_108
; %bb.96:                               ;   in Loop: Header=BB4_70 Depth=2
	s_mov_b64 s[44:45], exec
	v_mbcnt_lo_u32_b32 v0, s44, 0
	v_mbcnt_hi_u32_b32 v0, s45, v0
	v_cmp_eq_u32_e32 vcc, 0, v0
	s_waitcnt vmcnt(0) lgkmcnt(0)
	buffer_wbinvl1_vol
	s_and_saveexec_b64 s[42:43], vcc
	s_cbranch_execz .LBB4_98
; %bb.97:                               ;   in Loop: Header=BB4_70 Depth=2
	s_bcnt1_i32_b64 vcc_lo, s[44:45]
	v_mov_b32_e32 v40, vcc_lo
	ds_add_u64 v0, v[40:41]
	s_trap 2
.LBB4_98:                               ;   in Loop: Header=BB4_70 Depth=2
	s_or_b64 exec, exec, s[42:43]
	s_trap 2
	ds_read_b64 v[0:1], v0
	v_accvgpr_read_b32 v4, a20
	v_add_co_u32_e32 v42, vcc, v42, v4
	v_accvgpr_read_b32 v3, a37
	v_addc_co_u32_e32 v43, vcc, v43, v3, vcc
	s_waitcnt lgkmcnt(0)
	v_cmp_lt_u64_e32 vcc, v[0:1], v[42:43]
	s_and_saveexec_b64 s[42:43], vcc
	s_cbranch_execz .LBB4_107
; %bb.99:                               ;   in Loop: Header=BB4_70 Depth=2
	s_mov_b32 s60, 0
	s_mov_b64 s[44:45], 0
                                        ; implicit-def: $sgpr46_sgpr47
                                        ; implicit-def: $sgpr48_sgpr49
	s_branch .LBB4_101
.LBB4_100:                              ;   in Loop: Header=BB4_101 Depth=3
	s_or_b64 exec, exec, s[52:53]
	s_and_b64 vcc, exec, vcc
	s_or_b64 s[44:45], vcc, s[44:45]
	s_andn2_b64 vcc, s[46:47], exec
	s_and_b64 s[46:47], s[48:49], exec
	s_or_b64 s[46:47], vcc, s[46:47]
	s_andn2_b64 exec, exec, s[44:45]
	s_cbranch_execz .LBB4_105
.LBB4_101:                              ;   Parent Loop BB4_21 Depth=1
                                        ;     Parent Loop BB4_70 Depth=2
                                        ; =>    This Inner Loop Header: Depth=3
	s_add_i32 s60, s60, 1
	s_cmpk_lg_i32 s60, 0x2710
	s_cselect_b64 s[50:51], -1, 0
	s_and_b64 vcc, exec, s[50:51]
                                        ; implicit-def: $sgpr52_sgpr53
	s_cbranch_vccnz .LBB4_103
; %bb.102:                              ;   in Loop: Header=BB4_101 Depth=3
	s_trap 2
	ds_read_b64 v[0:1], v0
	s_andn2_b64 s[50:51], s[50:51], exec
	s_mov_b32 s60, 0
	s_mov_b64 s[52:53], -1
	s_waitcnt lgkmcnt(0)
	flat_load_dword v0, v[0:1] glc
	s_waitcnt vmcnt(0) lgkmcnt(0)
	buffer_invl2
	buffer_wbinvl1_vol
	v_cmp_eq_u32_e32 vcc, 0, v0
	s_and_b64 vcc, vcc, exec
	s_or_b64 s[50:51], s[50:51], vcc
.LBB4_103:                              ;   in Loop: Header=BB4_101 Depth=3
	s_andn2_b64 s[48:49], s[48:49], exec
	s_and_b64 s[52:53], s[52:53], exec
	s_mov_b64 vcc, -1
	s_or_b64 s[48:49], s[48:49], s[52:53]
	s_and_saveexec_b64 s[52:53], s[50:51]
	s_cbranch_execz .LBB4_100
; %bb.104:                              ;   in Loop: Header=BB4_101 Depth=3
	s_sleep 1
	s_trap 2
	ds_read_b64 v[0:1], v0
	s_andn2_b64 s[48:49], s[48:49], exec
	s_waitcnt lgkmcnt(0)
	v_cmp_ge_u64_e32 vcc, v[0:1], v[42:43]
	s_orn2_b64 vcc, vcc, exec
	s_branch .LBB4_100
.LBB4_105:                              ;   in Loop: Header=BB4_70 Depth=2
	s_or_b64 exec, exec, s[44:45]
	s_and_saveexec_b64 vcc, s[46:47]
	s_xor_b64 vcc, exec, vcc
	s_cbranch_execz .LBB4_107
; %bb.106:                              ;   in Loop: Header=BB4_70 Depth=2
	v_mov_b32_e32 v0, 1
	ds_write_b32 v0, v0
	s_trap 2
.LBB4_107:                              ;   in Loop: Header=BB4_70 Depth=2
	s_or_b64 exec, exec, s[42:43]
	;;#ASMSTART
	s_wakeup
	;;#ASMEND
.LBB4_108:                              ;   in Loop: Header=BB4_70 Depth=2
	s_or_b64 exec, exec, s[40:41]
.LBB4_109:                              ;   in Loop: Header=BB4_70 Depth=2
	s_andn2_saveexec_b64 vcc, s[38:39]
	s_cbranch_execz .LBB4_111
; %bb.110:                              ;   in Loop: Header=BB4_70 Depth=2
	s_waitcnt vmcnt(0) lgkmcnt(0)
	buffer_wbinvl1_vol
	s_barrier
.LBB4_111:                              ;   in Loop: Header=BB4_70 Depth=2
	s_or_b64 exec, exec, vcc
	s_or_b64 exec, exec, s[20:21]
	v_mov_b32_e32 v0, v24
	s_and_saveexec_b64 s[38:39], s[18:19]
	s_cbranch_execz .LBB4_73
.LBB4_112:                              ;   in Loop: Header=BB4_70 Depth=2
	s_waitcnt vmcnt(0) lgkmcnt(0)
	v_ashrrev_i32_e32 v0, 31, v2
	v_mul_lo_u32 v3, v45, v2
	v_mul_lo_u32 v4, v44, v0
	v_mad_u64_u32 v[0:1], s[20:21], v44, v2, 0
	v_add3_u32 v1, v1, v4, v3
	v_lshlrev_b64 v[0:1], 1, v[0:1]
	v_add_co_u32_e32 v40, vcc, v30, v0
	v_and_b32_e32 v0, 7, v34
	v_mul_lo_u32 v0, v0, s54
	v_addc_co_u32_e32 v21, vcc, v31, v1, vcc
	v_ashrrev_i32_e32 v1, 31, v0
	v_lshlrev_b64 v[0:1], 4, v[0:1]
	v_accvgpr_read_b32 v2, a14
	v_add_co_u32_e32 v7, vcc, v2, v0
	v_and_b32_e32 v0, 7, v10
	v_accvgpr_read_b32 v3, a15
	v_mul_lo_u32 v0, v0, s54
	v_addc_co_u32_e32 v25, vcc, v3, v1, vcc
	v_ashrrev_i32_e32 v1, 31, v0
	v_lshlrev_b64 v[0:1], 4, v[0:1]
	v_add_co_u32_e32 v47, vcc, v36, v0
	v_addc_co_u32_e32 v26, vcc, v37, v1, vcc
	v_mov_b32_e32 v1, v10
	v_add_co_u32_e64 v27, vcc, 0, 0
	v_accvgpr_write_b32 a34, v32
	v_add_u32_e32 v46, 1, v34
	v_addc_co_u32_e32 v3, vcc, 1, v1, vcc
	s_mov_b64 s[40:41], 0
	v_mov_b32_e32 v59, v48
	v_mov_b32_e32 v0, v24
	s_branch .LBB4_114
.LBB4_113:                              ;   in Loop: Header=BB4_114 Depth=3
	s_or_b64 exec, exec, s[20:21]
	v_add_co_u32_e32 v40, vcc, v40, v56
	v_addc_co_u32_e32 v21, vcc, v21, v57, vcc
	v_and_b32_e32 v16, 0xffff0000, v8
	v_add_co_u32_e32 v8, vcc, v47, v4
	v_and_b32_e32 v18, 0xffff0000, v9
	v_addc_co_u32_e32 v9, vcc, v26, v5, vcc
	v_sub_u32_e32 v59, v59, v58
	v_lshrrev_b32_e32 v1, 16, v1
	v_lshrrev_b32_e32 v17, 16, v2
	v_cmp_gt_i32_e32 vcc, 1, v59
	v_or3_b32 v2, v16, v1, v27
	v_or3_b32 v4, v18, v17, v27
	v_mov_b32_e32 v5, v3
	s_or_b64 s[40:41], vcc, s[40:41]
	v_add_u32_e32 v0, v0, v20
	global_store_dwordx4 v[8:9], v[2:5], off
	s_andn2_b64 exec, exec, s[40:41]
	s_cbranch_execz .LBB4_146
.LBB4_114:                              ;   Parent Loop BB4_21 Depth=1
                                        ;     Parent Loop BB4_70 Depth=2
                                        ; =>    This Loop Header: Depth=3
                                        ;         Child Loop BB4_122 Depth 4
	v_and_b32_e32 v4, -4, v40
	v_mov_b32_e32 v5, v21
	global_load_dword v8, v[4:5], off glc slc
	v_min_u32_e32 v1, 4, v59
	v_and_b32_e32 v9, 3, v40
	v_lshlrev_b32_e32 v1, 1, v1
	v_add_co_u32_e32 v16, vcc, v9, v1
	v_addc_co_u32_e64 v17, s[20:21], 0, 0, vcc
	v_mov_b32_e32 v2, 0
	v_cmp_lt_u64_e32 vcc, 4, v[16:17]
	v_mov_b32_e32 v49, 0
	s_and_saveexec_b64 s[20:21], vcc
	s_cbranch_execz .LBB4_116
; %bb.115:                              ;   in Loop: Header=BB4_114 Depth=3
	global_load_dword v49, v[4:5], off offset:4 glc slc
.LBB4_116:                              ;   in Loop: Header=BB4_114 Depth=3
	s_or_b64 exec, exec, s[20:21]
	v_cmp_lt_u64_e32 vcc, 8, v[16:17]
	s_and_saveexec_b64 s[20:21], vcc
	s_cbranch_execz .LBB4_118
; %bb.117:                              ;   in Loop: Header=BB4_114 Depth=3
	global_load_dword v2, v[4:5], off offset:8 glc slc
.LBB4_118:                              ;   in Loop: Header=BB4_114 Depth=3
	s_or_b64 exec, exec, s[20:21]
	v_ashrrev_i32_e32 v1, 31, v0
	v_lshlrev_b64 v[4:5], 4, v[0:1]
	v_add_co_u32_e32 v54, vcc, v7, v4
	v_addc_co_u32_e32 v55, vcc, v25, v5, vcc
	global_load_dwordx4 v[16:19], v[54:55], off glc slc
	v_cmp_eq_u32_e32 vcc, 0, v62
	s_and_saveexec_b64 s[42:43], vcc
	s_cbranch_execz .LBB4_130
; %bb.119:                              ;   in Loop: Header=BB4_114 Depth=3
	s_waitcnt vmcnt(0)
	v_cmp_ne_u32_e32 vcc, v46, v17
	v_cmp_ne_u32_e64 s[20:21], v46, v19
	s_or_b64 s[20:21], vcc, s[20:21]
	v_mov_b32_e32 v62, 0
	s_and_saveexec_b64 s[44:45], s[20:21]
	s_cbranch_execz .LBB4_129
; %bb.120:                              ;   in Loop: Header=BB4_114 Depth=3
	s_mov_b32 s50, 1
	s_mov_b64 s[46:47], 0
	v_mov_b32_e32 v62, 0
	s_branch .LBB4_122
.LBB4_121:                              ;   in Loop: Header=BB4_122 Depth=4
	s_or_b64 exec, exec, s[48:49]
	s_and_b64 s[20:21], exec, s[20:21]
	s_or_b64 s[46:47], s[20:21], s[46:47]
	s_andn2_b64 exec, exec, s[46:47]
	s_cbranch_execz .LBB4_128
.LBB4_122:                              ;   Parent Loop BB4_21 Depth=1
                                        ;     Parent Loop BB4_70 Depth=2
                                        ;       Parent Loop BB4_114 Depth=3
                                        ; =>      This Inner Loop Header: Depth=4
	global_load_dwordx4 v[16:19], v[54:55], off glc slc
	s_add_i32 s50, s50, 1
	s_cmpk_lg_i32 s50, 0x2710
	s_cbranch_scc1 .LBB4_126
; %bb.123:                              ;   in Loop: Header=BB4_122 Depth=4
	s_trap 2
	ds_read_b64 v[32:33], v0
	s_waitcnt vmcnt(0) lgkmcnt(0)
	flat_load_dword v1, v[32:33] glc
	s_waitcnt vmcnt(0) lgkmcnt(0)
	buffer_invl2
	buffer_wbinvl1_vol
	v_cmp_ne_u32_e32 vcc, 0, v1
	s_and_saveexec_b64 s[20:21], vcc
	s_cbranch_execz .LBB4_125
; %bb.124:                              ;   in Loop: Header=BB4_122 Depth=4
	v_mov_b32_e32 v62, 1
	ds_write_b32 v0, v1
	s_trap 2
.LBB4_125:                              ;   in Loop: Header=BB4_122 Depth=4
	s_or_b64 exec, exec, s[20:21]
	s_mov_b32 s50, 0
	v_mov_b32_e32 v1, v62
	v_cmp_eq_u32_e32 vcc, 0, v1
	s_mov_b64 s[20:21], -1
	s_and_saveexec_b64 s[48:49], vcc
	s_cbranch_execz .LBB4_121
	s_branch .LBB4_127
.LBB4_126:                              ;   in Loop: Header=BB4_122 Depth=4
	v_mov_b32_e32 v1, 0
	v_cmp_eq_u32_e32 vcc, 0, v1
	s_mov_b64 s[20:21], -1
	s_and_saveexec_b64 s[48:49], vcc
	s_cbranch_execz .LBB4_121
.LBB4_127:                              ;   in Loop: Header=BB4_122 Depth=4
	s_waitcnt vmcnt(0)
	v_cmp_eq_u32_e32 vcc, v46, v17
	v_cmp_eq_u32_e64 s[20:21], v46, v19
	s_and_b64 s[20:21], vcc, s[20:21]
	s_orn2_b64 s[20:21], s[20:21], exec
	s_branch .LBB4_121
.LBB4_128:                              ;   in Loop: Header=BB4_114 Depth=3
	s_or_b64 exec, exec, s[46:47]
.LBB4_129:                              ;   in Loop: Header=BB4_114 Depth=3
	s_or_b64 exec, exec, s[44:45]
.LBB4_130:                              ;   in Loop: Header=BB4_114 Depth=3
	s_or_b64 exec, exec, s[42:43]
	v_lshlrev_b32_e32 v9, 3, v40
	s_waitcnt vmcnt(1)
	v_alignbit_b32 v8, v49, v8, v9
	s_waitcnt vmcnt(0)
	v_lshlrev_b32_e32 v32, 16, v16
	v_lshlrev_b32_e32 v54, 16, v8
	v_pk_mul_f32 v[54:55], v[32:33], v[54:55] op_sel_hi:[0,1]
	v_and_b32_e32 v1, 0x7f800000, v54
	v_cmp_ne_u32_e32 vcc, s56, v1
                                        ; implicit-def: $vgpr1
	s_and_saveexec_b64 s[20:21], vcc
	s_xor_b64 s[20:21], exec, s[20:21]
; %bb.131:                              ;   in Loop: Header=BB4_114 Depth=3
	v_bfe_u32 v1, v54, 16, 1
	v_add3_u32 v1, v54, v1, s57
                                        ; implicit-def: $vgpr54_vgpr55
; %bb.132:                              ;   in Loop: Header=BB4_114 Depth=3
	s_andn2_saveexec_b64 s[20:21], s[20:21]
; %bb.133:                              ;   in Loop: Header=BB4_114 Depth=3
	v_or_b32_e32 v1, 0x10000, v54
	v_cmp_eq_u32_sdwa vcc, v54, v41 src0_sel:WORD_0 src1_sel:DWORD
	v_cndmask_b32_e32 v1, v1, v54, vcc
; %bb.134:                              ;   in Loop: Header=BB4_114 Depth=3
	s_or_b64 exec, exec, s[20:21]
	v_mov_b32_e32 v17, v16
	v_and_b32_e32 v16, 0xffff0000, v17
	v_and_b32_e32 v8, 0xffff0000, v8
	v_pk_mul_f32 v[16:17], v[16:17], v[8:9] op_sel_hi:[0,1]
	v_and_b32_e32 v8, 0x7f800000, v16
	v_cmp_ne_u32_e32 vcc, s56, v8
                                        ; implicit-def: $vgpr8
	s_and_saveexec_b64 s[20:21], vcc
	s_xor_b64 s[20:21], exec, s[20:21]
; %bb.135:                              ;   in Loop: Header=BB4_114 Depth=3
	v_bfe_u32 v8, v16, 16, 1
	v_add3_u32 v8, v16, v8, s57
                                        ; implicit-def: $vgpr16_vgpr17
; %bb.136:                              ;   in Loop: Header=BB4_114 Depth=3
	s_andn2_saveexec_b64 s[20:21], s[20:21]
; %bb.137:                              ;   in Loop: Header=BB4_114 Depth=3
	v_or_b32_e32 v8, 0x10000, v16
	v_cmp_eq_u32_sdwa vcc, v16, v41 src0_sel:WORD_0 src1_sel:DWORD
	v_cndmask_b32_e32 v8, v8, v16, vcc
; %bb.138:                              ;   in Loop: Header=BB4_114 Depth=3
	s_or_b64 exec, exec, s[20:21]
	v_alignbit_b32 v9, v2, v49, v9
	v_lshlrev_b32_e32 v2, 16, v9
	v_lshlrev_b32_e32 v16, 16, v18
	v_pk_mul_f32 v[16:17], v[16:17], v[2:3] op_sel_hi:[0,1]
	v_and_b32_e32 v2, 0x7f800000, v16
	v_cmp_ne_u32_e32 vcc, s56, v2
                                        ; implicit-def: $vgpr2
	s_and_saveexec_b64 s[20:21], vcc
	s_xor_b64 s[20:21], exec, s[20:21]
; %bb.139:                              ;   in Loop: Header=BB4_114 Depth=3
	v_bfe_u32 v2, v16, 16, 1
	v_add3_u32 v2, v16, v2, s57
                                        ; implicit-def: $vgpr16_vgpr17
; %bb.140:                              ;   in Loop: Header=BB4_114 Depth=3
	s_andn2_saveexec_b64 s[20:21], s[20:21]
; %bb.141:                              ;   in Loop: Header=BB4_114 Depth=3
	v_or_b32_e32 v2, 0x10000, v16
	v_cmp_eq_u32_sdwa vcc, v16, v41 src0_sel:WORD_0 src1_sel:DWORD
	v_cndmask_b32_e32 v2, v2, v16, vcc
; %bb.142:                              ;   in Loop: Header=BB4_114 Depth=3
	s_or_b64 exec, exec, s[20:21]
	v_mov_b32_e32 v17, v18
	v_and_b32_e32 v16, 0xffff0000, v17
	v_and_b32_e32 v18, 0xffff0000, v9
	v_pk_mul_f32 v[16:17], v[16:17], v[18:19] op_sel_hi:[0,1]
	v_and_b32_e32 v9, 0x7f800000, v16
	v_cmp_ne_u32_e32 vcc, s56, v9
                                        ; implicit-def: $vgpr9
	s_and_saveexec_b64 s[20:21], vcc
	s_xor_b64 s[20:21], exec, s[20:21]
; %bb.143:                              ;   in Loop: Header=BB4_114 Depth=3
	v_bfe_u32 v9, v16, 16, 1
	v_add3_u32 v9, v16, v9, s57
                                        ; implicit-def: $vgpr16_vgpr17
; %bb.144:                              ;   in Loop: Header=BB4_114 Depth=3
	s_andn2_saveexec_b64 s[20:21], s[20:21]
	s_cbranch_execz .LBB4_113
; %bb.145:                              ;   in Loop: Header=BB4_114 Depth=3
	v_or_b32_e32 v9, 0x10000, v16
	v_cmp_eq_u32_sdwa vcc, v16, v41 src0_sel:WORD_0 src1_sel:DWORD
	v_cndmask_b32_e32 v9, v9, v16, vcc
	s_branch .LBB4_113
.LBB4_146:                              ;   in Loop: Header=BB4_70 Depth=2
	s_or_b64 exec, exec, s[40:41]
	v_accvgpr_read_b32 v32, a34
	s_or_b64 exec, exec, s[38:39]
	s_and_saveexec_b64 s[20:21], s[10:11]
	s_cbranch_execz .LBB4_74
.LBB4_147:                              ;   in Loop: Header=BB4_70 Depth=2
	s_and_saveexec_b64 vcc, s[30:31]
	s_xor_b64 s[38:39], exec, vcc
	s_cbranch_execz .LBB4_162
; %bb.148:                              ;   in Loop: Header=BB4_70 Depth=2
	s_and_saveexec_b64 s[40:41], s[12:13]
	s_cbranch_execz .LBB4_161
; %bb.149:                              ;   in Loop: Header=BB4_70 Depth=2
	s_mov_b64 s[44:45], exec
	v_mbcnt_lo_u32_b32 v1, s44, 0
	v_mbcnt_hi_u32_b32 v1, s45, v1
	v_cmp_eq_u32_e32 vcc, 0, v1
	s_waitcnt vmcnt(0) lgkmcnt(0)
	buffer_wbinvl1_vol
	s_and_saveexec_b64 s[42:43], vcc
	s_cbranch_execz .LBB4_151
; %bb.150:                              ;   in Loop: Header=BB4_70 Depth=2
	s_bcnt1_i32_b64 vcc_lo, s[44:45]
	v_mov_b32_e32 v40, vcc_lo
	ds_add_u64 v0, v[40:41]
	s_trap 2
.LBB4_151:                              ;   in Loop: Header=BB4_70 Depth=2
	s_or_b64 exec, exec, s[42:43]
	s_trap 2
	ds_read_b64 v[2:3], v0
	v_accvgpr_read_b32 v4, a20
	v_add_co_u32_e32 v42, vcc, v42, v4
	v_accvgpr_read_b32 v1, a37
	v_addc_co_u32_e32 v43, vcc, v43, v1, vcc
	s_waitcnt lgkmcnt(0)
	v_cmp_lt_u64_e32 vcc, v[2:3], v[42:43]
	s_and_saveexec_b64 s[42:43], vcc
	s_cbranch_execz .LBB4_160
; %bb.152:                              ;   in Loop: Header=BB4_70 Depth=2
	s_mov_b32 s60, 0
	s_mov_b64 s[44:45], 0
                                        ; implicit-def: $sgpr46_sgpr47
                                        ; implicit-def: $sgpr48_sgpr49
	s_branch .LBB4_154
.LBB4_153:                              ;   in Loop: Header=BB4_154 Depth=3
	s_or_b64 exec, exec, s[52:53]
	s_and_b64 vcc, exec, vcc
	s_or_b64 s[44:45], vcc, s[44:45]
	s_andn2_b64 vcc, s[46:47], exec
	s_and_b64 s[46:47], s[48:49], exec
	s_or_b64 s[46:47], vcc, s[46:47]
	s_andn2_b64 exec, exec, s[44:45]
	s_cbranch_execz .LBB4_158
.LBB4_154:                              ;   Parent Loop BB4_21 Depth=1
                                        ;     Parent Loop BB4_70 Depth=2
                                        ; =>    This Inner Loop Header: Depth=3
	s_add_i32 s60, s60, 1
	s_cmpk_lg_i32 s60, 0x2710
	s_cselect_b64 s[50:51], -1, 0
	s_and_b64 vcc, exec, s[50:51]
                                        ; implicit-def: $sgpr52_sgpr53
	s_cbranch_vccnz .LBB4_156
; %bb.155:                              ;   in Loop: Header=BB4_154 Depth=3
	s_trap 2
	ds_read_b64 v[2:3], v0
	s_andn2_b64 s[50:51], s[50:51], exec
	s_mov_b32 s60, 0
	s_mov_b64 s[52:53], -1
	s_waitcnt lgkmcnt(0)
	flat_load_dword v1, v[2:3] glc
	s_waitcnt vmcnt(0) lgkmcnt(0)
	buffer_invl2
	buffer_wbinvl1_vol
	v_cmp_eq_u32_e32 vcc, 0, v1
	s_and_b64 vcc, vcc, exec
	s_or_b64 s[50:51], s[50:51], vcc
.LBB4_156:                              ;   in Loop: Header=BB4_154 Depth=3
	s_andn2_b64 s[48:49], s[48:49], exec
	s_and_b64 s[52:53], s[52:53], exec
	s_mov_b64 vcc, -1
	s_or_b64 s[48:49], s[48:49], s[52:53]
	s_and_saveexec_b64 s[52:53], s[50:51]
	s_cbranch_execz .LBB4_153
; %bb.157:                              ;   in Loop: Header=BB4_154 Depth=3
	s_sleep 1
	s_trap 2
	ds_read_b64 v[2:3], v0
	s_andn2_b64 s[48:49], s[48:49], exec
	s_waitcnt lgkmcnt(0)
	v_cmp_ge_u64_e32 vcc, v[2:3], v[42:43]
	s_orn2_b64 vcc, vcc, exec
	s_branch .LBB4_153
.LBB4_158:                              ;   in Loop: Header=BB4_70 Depth=2
	s_or_b64 exec, exec, s[44:45]
	s_and_saveexec_b64 vcc, s[46:47]
	s_xor_b64 vcc, exec, vcc
	s_cbranch_execz .LBB4_160
; %bb.159:                              ;   in Loop: Header=BB4_70 Depth=2
	v_mov_b32_e32 v1, 1
	ds_write_b32 v0, v1
	s_trap 2
.LBB4_160:                              ;   in Loop: Header=BB4_70 Depth=2
	s_or_b64 exec, exec, s[42:43]
	;;#ASMSTART
	s_wakeup
	;;#ASMEND
.LBB4_161:                              ;   in Loop: Header=BB4_70 Depth=2
	s_or_b64 exec, exec, s[40:41]
.LBB4_162:                              ;   in Loop: Header=BB4_70 Depth=2
	s_andn2_saveexec_b64 vcc, s[38:39]
	s_cbranch_execz .LBB4_164
; %bb.163:                              ;   in Loop: Header=BB4_70 Depth=2
	s_waitcnt vmcnt(0) lgkmcnt(0)
	buffer_wbinvl1_vol
	s_barrier
.LBB4_164:                              ;   in Loop: Header=BB4_70 Depth=2
	s_or_b64 exec, exec, vcc
	s_or_b64 exec, exec, s[20:21]
	s_and_saveexec_b64 s[20:21], s[14:15]
	s_cbranch_execnz .LBB4_75
	s_branch .LBB4_76
.LBB4_165:                              ;   in Loop: Header=BB4_21 Depth=1
	v_pk_mov_b32 v[16:17], v[10:11], v[10:11] op_sel:[0,1]
	s_and_saveexec_b64 s[20:21], s[18:19]
	s_cbranch_execnz .LBB4_167
	s_branch .LBB4_212
.LBB4_166:                              ;   in Loop: Header=BB4_21 Depth=1
	v_accvgpr_read_b32 v6, a42
	v_pk_mov_b32 v[16:17], v[10:11], v[10:11] op_sel:[0,1]
	v_accvgpr_read_b32 v31, a31
	v_accvgpr_read_b32 v7, a43
	s_and_saveexec_b64 s[20:21], s[18:19]
	s_cbranch_execz .LBB4_212
.LBB4_167:                              ;   in Loop: Header=BB4_21 Depth=1
	flat_load_dword v4, v[22:23]
	s_waitcnt vmcnt(0) lgkmcnt(0)
	v_accvgpr_read_b32 v2, a8
	v_accvgpr_read_b32 v3, a9
	v_add_co_u32_e32 v5, vcc, v2, v6
	v_and_b32_e32 v2, 7, v34
	v_addc_co_u32_e32 v8, vcc, v3, v7, vcc
	v_accvgpr_read_b32 v0, a26
	v_mul_lo_u32 v2, v2, s54
	v_add_co_u32_e32 v0, vcc, v0, v6
	v_accvgpr_read_b32 v1, a27
	v_ashrrev_i32_e32 v3, 31, v2
	v_addc_co_u32_e32 v1, vcc, v1, v7, vcc
	v_lshlrev_b64 v[2:3], 4, v[2:3]
	v_accvgpr_read_b32 v10, a14
	v_accvgpr_read_b32 v11, a15
	v_add_co_u32_e32 v7, vcc, v10, v2
	v_addc_co_u32_e32 v21, vcc, v11, v3, vcc
	v_add_u32_e32 v6, 1, v34
	s_mov_b64 s[38:39], 0
	v_mov_b32_e32 v18, v24
	v_ashrrev_i32_e32 v9, 31, v4
	v_mul_lo_u32 v10, v45, v4
	v_mad_u64_u32 v[2:3], s[18:19], v44, v4, 0
	v_mul_lo_u32 v4, v44, v9
	v_add3_u32 v3, v3, v4, v10
	v_lshlrev_b64 v[2:3], 1, v[2:3]
	v_add_co_u32_e32 v2, vcc, v5, v2
	v_addc_co_u32_e32 v3, vcc, v8, v3, vcc
	v_accvgpr_read_b32 v4, a24
	v_accvgpr_read_b32 v5, a25
	v_add_co_u32_e32 v10, vcc, v2, v4
	v_addc_co_u32_e32 v11, vcc, v3, v5, vcc
	s_branch .LBB4_169
.LBB4_168:                              ;   in Loop: Header=BB4_169 Depth=2
	v_add_co_u32_e32 v10, vcc, v10, v56
	v_addc_co_u32_e32 v11, vcc, v11, v57, vcc
	v_add_co_u32_e32 v0, vcc, v0, v56
	v_addc_co_u32_e32 v1, vcc, v1, v57, vcc
	v_sub_u32_e32 v48, v48, v58
	v_cmp_gt_i32_e32 vcc, 1, v48
	s_or_b64 s[38:39], vcc, s[38:39]
	v_add_u32_e32 v18, v18, v20
	s_andn2_b64 exec, exec, s[38:39]
	s_cbranch_execz .LBB4_211
.LBB4_169:                              ;   Parent Loop BB4_21 Depth=1
                                        ; =>  This Loop Header: Depth=2
                                        ;       Child Loop BB4_177 Depth 3
	v_and_b32_e32 v2, -4, v10
	v_mov_b32_e32 v3, v11
	global_load_dword v27, v[2:3], off glc slc
	v_min_u32_e32 v4, 4, v48
	v_and_b32_e32 v5, 3, v10
	v_lshlrev_b32_e32 v4, 1, v4
	v_add_co_u32_e32 v4, vcc, v5, v4
	v_addc_co_u32_e64 v5, s[18:19], 0, 0, vcc
	v_mov_b32_e32 v25, 0
	v_cmp_lt_u64_e32 vcc, 4, v[4:5]
	v_mov_b32_e32 v26, 0
	s_and_saveexec_b64 s[18:19], vcc
	s_cbranch_execz .LBB4_171
; %bb.170:                              ;   in Loop: Header=BB4_169 Depth=2
	global_load_dword v26, v[2:3], off offset:4 glc slc
.LBB4_171:                              ;   in Loop: Header=BB4_169 Depth=2
	s_or_b64 exec, exec, s[18:19]
	v_cmp_lt_u64_e32 vcc, 8, v[4:5]
	s_and_saveexec_b64 s[18:19], vcc
	s_cbranch_execz .LBB4_173
; %bb.172:                              ;   in Loop: Header=BB4_169 Depth=2
	global_load_dword v25, v[2:3], off offset:8 glc slc
.LBB4_173:                              ;   in Loop: Header=BB4_169 Depth=2
	s_or_b64 exec, exec, s[18:19]
	v_ashrrev_i32_e32 v19, 31, v18
	v_lshlrev_b64 v[2:3], 4, v[18:19]
	v_add_co_u32_e32 v46, vcc, v7, v2
	v_addc_co_u32_e32 v47, vcc, v21, v3, vcc
	global_load_dwordx4 v[2:5], v[46:47], off glc slc
	v_cmp_eq_u32_e32 vcc, 0, v62
	s_and_saveexec_b64 s[40:41], vcc
	s_cbranch_execz .LBB4_185
; %bb.174:                              ;   in Loop: Header=BB4_169 Depth=2
	s_waitcnt vmcnt(0)
	v_cmp_ne_u32_e32 vcc, v6, v3
	v_cmp_ne_u32_e64 s[18:19], v6, v5
	s_or_b64 s[18:19], vcc, s[18:19]
	v_mov_b32_e32 v62, 0
	s_and_saveexec_b64 s[42:43], s[18:19]
	s_cbranch_execz .LBB4_184
; %bb.175:                              ;   in Loop: Header=BB4_169 Depth=2
	s_mov_b32 s48, 1
	s_mov_b64 s[44:45], 0
	v_mov_b32_e32 v62, 0
	s_branch .LBB4_177
.LBB4_176:                              ;   in Loop: Header=BB4_177 Depth=3
	s_or_b64 exec, exec, s[46:47]
	s_and_b64 s[18:19], exec, s[18:19]
	s_or_b64 s[44:45], s[18:19], s[44:45]
	s_andn2_b64 exec, exec, s[44:45]
	s_cbranch_execz .LBB4_183
.LBB4_177:                              ;   Parent Loop BB4_21 Depth=1
                                        ;     Parent Loop BB4_169 Depth=2
                                        ; =>    This Inner Loop Header: Depth=3
	global_load_dwordx4 v[2:5], v[46:47], off glc slc
	s_add_i32 s48, s48, 1
	s_cmpk_lg_i32 s48, 0x2710
	s_cbranch_scc1 .LBB4_181
; %bb.178:                              ;   in Loop: Header=BB4_177 Depth=3
	s_trap 2
	ds_read_b64 v[8:9], v0
	s_waitcnt vmcnt(0) lgkmcnt(0)
	flat_load_dword v8, v[8:9] glc
	s_waitcnt vmcnt(0) lgkmcnt(0)
	buffer_invl2
	buffer_wbinvl1_vol
	v_cmp_ne_u32_e32 vcc, 0, v8
	s_and_saveexec_b64 s[18:19], vcc
	s_cbranch_execz .LBB4_180
; %bb.179:                              ;   in Loop: Header=BB4_177 Depth=3
	v_mov_b32_e32 v62, 1
	ds_write_b32 v0, v8
	s_trap 2
.LBB4_180:                              ;   in Loop: Header=BB4_177 Depth=3
	s_or_b64 exec, exec, s[18:19]
	s_mov_b32 s48, 0
	v_mov_b32_e32 v8, v62
	v_cmp_eq_u32_e32 vcc, 0, v8
	s_mov_b64 s[18:19], -1
	s_and_saveexec_b64 s[46:47], vcc
	s_cbranch_execz .LBB4_176
	s_branch .LBB4_182
.LBB4_181:                              ;   in Loop: Header=BB4_177 Depth=3
	v_mov_b32_e32 v8, 0
	v_cmp_eq_u32_e32 vcc, 0, v8
	s_mov_b64 s[18:19], -1
	s_and_saveexec_b64 s[46:47], vcc
	s_cbranch_execz .LBB4_176
.LBB4_182:                              ;   in Loop: Header=BB4_177 Depth=3
	s_waitcnt vmcnt(0)
	v_cmp_eq_u32_e32 vcc, v6, v3
	v_cmp_eq_u32_e64 s[18:19], v6, v5
	s_and_b64 s[18:19], vcc, s[18:19]
	s_orn2_b64 s[18:19], s[18:19], exec
	s_branch .LBB4_176
.LBB4_183:                              ;   in Loop: Header=BB4_169 Depth=2
	s_or_b64 exec, exec, s[44:45]
.LBB4_184:                              ;   in Loop: Header=BB4_169 Depth=2
	s_or_b64 exec, exec, s[42:43]
.LBB4_185:                              ;   in Loop: Header=BB4_169 Depth=2
	s_or_b64 exec, exec, s[40:41]
	v_lshlrev_b32_e32 v9, 3, v10
	s_waitcnt vmcnt(0)
	v_alignbit_b32 v3, v26, v27, v9
	v_lshlrev_b32_e32 v8, 16, v2
	v_lshlrev_b32_e32 v30, 16, v3
	v_pk_mul_f32 v[54:55], v[8:9], v[30:31] op_sel_hi:[0,1]
	v_and_b32_e32 v5, 0x7f800000, v54
	v_cmp_ne_u32_e32 vcc, s56, v5
                                        ; implicit-def: $vgpr5
	s_and_saveexec_b64 s[18:19], vcc
	s_xor_b64 s[18:19], exec, s[18:19]
; %bb.186:                              ;   in Loop: Header=BB4_169 Depth=2
	v_bfe_u32 v5, v54, 16, 1
	v_add3_u32 v5, v54, v5, s57
                                        ; implicit-def: $vgpr54_vgpr55
; %bb.187:                              ;   in Loop: Header=BB4_169 Depth=2
	s_andn2_saveexec_b64 s[18:19], s[18:19]
; %bb.188:                              ;   in Loop: Header=BB4_169 Depth=2
	v_or_b32_e32 v5, 0x10000, v54
	v_cmp_eq_u32_sdwa vcc, v54, v41 src0_sel:WORD_0 src1_sel:DWORD
	v_cndmask_b32_e32 v5, v5, v54, vcc
; %bb.189:                              ;   in Loop: Header=BB4_169 Depth=2
	s_or_b64 exec, exec, s[18:19]
	v_mov_b32_e32 v19, v2
	v_and_b32_e32 v2, 0xffff0000, v19
	v_and_b32_e32 v8, 0xffff0000, v3
	v_pk_mul_f32 v[2:3], v[2:3], v[8:9] op_sel_hi:[0,1]
	v_and_b32_e32 v3, 0x7f800000, v2
	v_cmp_ne_u32_e32 vcc, s56, v3
                                        ; implicit-def: $vgpr8
	s_and_saveexec_b64 s[18:19], vcc
	s_xor_b64 s[18:19], exec, s[18:19]
; %bb.190:                              ;   in Loop: Header=BB4_169 Depth=2
	v_bfe_u32 v3, v2, 16, 1
	v_add3_u32 v8, v2, v3, s57
                                        ; implicit-def: $vgpr2_vgpr3
; %bb.191:                              ;   in Loop: Header=BB4_169 Depth=2
	s_andn2_saveexec_b64 s[18:19], s[18:19]
; %bb.192:                              ;   in Loop: Header=BB4_169 Depth=2
	v_or_b32_e32 v3, 0x10000, v2
	v_cmp_eq_u32_sdwa vcc, v2, v41 src0_sel:WORD_0 src1_sel:DWORD
	v_cndmask_b32_e32 v8, v3, v2, vcc
; %bb.193:                              ;   in Loop: Header=BB4_169 Depth=2
	s_or_b64 exec, exec, s[18:19]
	v_alignbit_b32 v19, v25, v26, v9
	v_lshlrev_b32_e32 v2, 16, v19
	v_lshlrev_b32_e32 v26, 16, v4
	v_pk_mul_f32 v[2:3], v[26:27], v[2:3] op_sel_hi:[0,1]
	v_and_b32_e32 v3, 0x7f800000, v2
	v_cmp_ne_u32_e32 vcc, s56, v3
                                        ; implicit-def: $vgpr9
	s_and_saveexec_b64 s[18:19], vcc
	s_xor_b64 s[18:19], exec, s[18:19]
; %bb.194:                              ;   in Loop: Header=BB4_169 Depth=2
	v_bfe_u32 v3, v2, 16, 1
	v_add3_u32 v9, v2, v3, s57
                                        ; implicit-def: $vgpr2_vgpr3
; %bb.195:                              ;   in Loop: Header=BB4_169 Depth=2
	s_andn2_saveexec_b64 s[18:19], s[18:19]
; %bb.196:                              ;   in Loop: Header=BB4_169 Depth=2
	v_or_b32_e32 v3, 0x10000, v2
	v_cmp_eq_u32_sdwa vcc, v2, v41 src0_sel:WORD_0 src1_sel:DWORD
	v_cndmask_b32_e32 v9, v3, v2, vcc
; %bb.197:                              ;   in Loop: Header=BB4_169 Depth=2
	s_or_b64 exec, exec, s[18:19]
	v_mov_b32_e32 v3, v4
	v_and_b32_e32 v2, 0xffff0000, v3
	v_and_b32_e32 v4, 0xffff0000, v19
	v_pk_mul_f32 v[2:3], v[2:3], v[4:5] op_sel_hi:[0,1]
	v_and_b32_e32 v3, 0x7f800000, v2
	v_cmp_ne_u32_e32 vcc, s56, v3
                                        ; implicit-def: $vgpr4
	s_and_saveexec_b64 s[18:19], vcc
	s_xor_b64 s[18:19], exec, s[18:19]
; %bb.198:                              ;   in Loop: Header=BB4_169 Depth=2
	v_bfe_u32 v3, v2, 16, 1
	v_add3_u32 v4, v2, v3, s57
                                        ; implicit-def: $vgpr2_vgpr3
; %bb.199:                              ;   in Loop: Header=BB4_169 Depth=2
	s_andn2_saveexec_b64 s[18:19], s[18:19]
; %bb.200:                              ;   in Loop: Header=BB4_169 Depth=2
	v_or_b32_e32 v3, 0x10000, v2
	v_cmp_eq_u32_sdwa vcc, v2, v41 src0_sel:WORD_0 src1_sel:DWORD
	v_cndmask_b32_e32 v4, v3, v2, vcc
; %bb.201:                              ;   in Loop: Header=BB4_169 Depth=2
	s_or_b64 exec, exec, s[18:19]
	v_cmp_lt_u32_e32 vcc, 3, v48
	s_and_b64 s[18:19], s[16:17], vcc
	v_cndmask_b32_e64 v2, 0, 1, s[18:19]
	;;#ASMSTART
	;;#ASMEND
	v_cmp_ne_u32_e64 s[18:19], 0, v2
	s_cmp_lg_u64 s[18:19], exec
	s_mov_b64 s[18:19], -1
	s_cbranch_scc0 .LBB4_207
; %bb.202:                              ;   in Loop: Header=BB4_169 Depth=2
	v_cmp_ne_u32_e64 s[18:19], 1, v48
	flat_store_short_d16_hi v[0:1], v5
	s_and_saveexec_b64 s[40:41], s[18:19]
	s_cbranch_execnz .LBB4_209
; %bb.203:                              ;   in Loop: Header=BB4_169 Depth=2
	s_or_b64 exec, exec, s[40:41]
	v_cmp_lt_u32_e64 s[18:19], 2, v48
	s_and_saveexec_b64 s[40:41], s[18:19]
	s_cbranch_execnz .LBB4_210
.LBB4_204:                              ;   in Loop: Header=BB4_169 Depth=2
	s_or_b64 exec, exec, s[40:41]
	s_and_saveexec_b64 s[18:19], vcc
	s_cbranch_execz .LBB4_206
.LBB4_205:                              ;   in Loop: Header=BB4_169 Depth=2
	flat_store_short_d16_hi v[0:1], v4 offset:6
.LBB4_206:                              ;   in Loop: Header=BB4_169 Depth=2
	s_or_b64 exec, exec, s[18:19]
	s_mov_b64 s[18:19], 0
.LBB4_207:                              ;   in Loop: Header=BB4_169 Depth=2
	s_and_b64 vcc, exec, s[18:19]
	s_cbranch_vccz .LBB4_168
; %bb.208:                              ;   in Loop: Header=BB4_169 Depth=2
	v_lshrrev_b32_e32 v2, 16, v5
	v_lshrrev_b32_e32 v3, 16, v9
	v_and_or_b32 v2, v8, s58, v2
	v_and_or_b32 v3, v4, s58, v3
	global_store_dwordx2 v[0:1], v[2:3], off
	s_branch .LBB4_168
.LBB4_209:                              ;   in Loop: Header=BB4_169 Depth=2
	flat_store_short_d16_hi v[0:1], v8 offset:2
	s_or_b64 exec, exec, s[40:41]
	v_cmp_lt_u32_e64 s[18:19], 2, v48
	s_and_saveexec_b64 s[40:41], s[18:19]
	s_cbranch_execz .LBB4_204
.LBB4_210:                              ;   in Loop: Header=BB4_169 Depth=2
	flat_store_short_d16_hi v[0:1], v9 offset:4
	s_or_b64 exec, exec, s[40:41]
	s_and_saveexec_b64 s[18:19], vcc
	s_cbranch_execnz .LBB4_205
	s_branch .LBB4_206
.LBB4_211:                              ;   in Loop: Header=BB4_21 Depth=1
	s_or_b64 exec, exec, s[38:39]
.LBB4_212:                              ;   in Loop: Header=BB4_21 Depth=1
	s_or_b64 exec, exec, s[20:21]
	v_accvgpr_read_b32 v5, a3
	v_accvgpr_read_b32 v9, a7
	;; [unrolled: 1-line block ×4, first 2 shown]
	s_and_saveexec_b64 s[18:19], s[10:11]
	s_cbranch_execz .LBB4_231
; %bb.213:                              ;   in Loop: Header=BB4_21 Depth=1
	s_and_saveexec_b64 s[20:21], s[30:31]
	s_xor_b64 s[20:21], exec, s[20:21]
	s_cbranch_execz .LBB4_228
; %bb.214:                              ;   in Loop: Header=BB4_21 Depth=1
	s_and_saveexec_b64 s[38:39], s[12:13]
	s_cbranch_execz .LBB4_227
; %bb.215:                              ;   in Loop: Header=BB4_21 Depth=1
	s_mov_b64 s[42:43], exec
	v_mbcnt_lo_u32_b32 v0, s42, 0
	v_mbcnt_hi_u32_b32 v0, s43, v0
	v_cmp_eq_u32_e32 vcc, 0, v0
	s_waitcnt vmcnt(0) lgkmcnt(0)
	buffer_wbinvl1_vol
	s_and_saveexec_b64 s[40:41], vcc
	s_cbranch_execz .LBB4_217
; %bb.216:                              ;   in Loop: Header=BB4_21 Depth=1
	s_bcnt1_i32_b64 vcc_lo, s[42:43]
	v_mov_b32_e32 v40, vcc_lo
	ds_add_u64 v0, v[40:41]
	s_trap 2
.LBB4_217:                              ;   in Loop: Header=BB4_21 Depth=1
	s_or_b64 exec, exec, s[40:41]
	s_trap 2
	ds_read_b64 v[0:1], v0
	v_accvgpr_read_b32 v2, a20
	v_add_co_u32_e32 v42, vcc, v42, v2
	v_accvgpr_read_b32 v3, a37
	v_addc_co_u32_e32 v43, vcc, v43, v3, vcc
	s_waitcnt lgkmcnt(0)
	v_cmp_lt_u64_e32 vcc, v[0:1], v[42:43]
	s_and_saveexec_b64 s[40:41], vcc
	s_cbranch_execz .LBB4_226
; %bb.218:                              ;   in Loop: Header=BB4_21 Depth=1
	s_mov_b32 s52, 0
	s_mov_b64 s[42:43], 0
                                        ; implicit-def: $sgpr44_sgpr45
                                        ; implicit-def: $sgpr46_sgpr47
	s_branch .LBB4_220
.LBB4_219:                              ;   in Loop: Header=BB4_220 Depth=2
	s_or_b64 exec, exec, s[50:51]
	s_and_b64 vcc, exec, vcc
	s_or_b64 s[42:43], vcc, s[42:43]
	s_andn2_b64 vcc, s[44:45], exec
	s_and_b64 s[44:45], s[46:47], exec
	s_or_b64 s[44:45], vcc, s[44:45]
	s_andn2_b64 exec, exec, s[42:43]
	s_cbranch_execz .LBB4_224
.LBB4_220:                              ;   Parent Loop BB4_21 Depth=1
                                        ; =>  This Inner Loop Header: Depth=2
	s_add_i32 s52, s52, 1
	s_cmpk_lg_i32 s52, 0x2710
	s_cselect_b64 s[48:49], -1, 0
	s_and_b64 vcc, exec, s[48:49]
                                        ; implicit-def: $sgpr50_sgpr51
	s_cbranch_vccnz .LBB4_222
; %bb.221:                              ;   in Loop: Header=BB4_220 Depth=2
	s_trap 2
	ds_read_b64 v[0:1], v0
	s_andn2_b64 s[48:49], s[48:49], exec
	s_mov_b32 s52, 0
	s_mov_b64 s[50:51], -1
	s_waitcnt lgkmcnt(0)
	flat_load_dword v0, v[0:1] glc
	s_waitcnt vmcnt(0) lgkmcnt(0)
	buffer_invl2
	buffer_wbinvl1_vol
	v_cmp_eq_u32_e32 vcc, 0, v0
	s_and_b64 vcc, vcc, exec
	s_or_b64 s[48:49], s[48:49], vcc
.LBB4_222:                              ;   in Loop: Header=BB4_220 Depth=2
	s_andn2_b64 s[46:47], s[46:47], exec
	s_and_b64 s[50:51], s[50:51], exec
	s_mov_b64 vcc, -1
	s_or_b64 s[46:47], s[46:47], s[50:51]
	s_and_saveexec_b64 s[50:51], s[48:49]
	s_cbranch_execz .LBB4_219
; %bb.223:                              ;   in Loop: Header=BB4_220 Depth=2
	s_sleep 1
	s_trap 2
	ds_read_b64 v[0:1], v0
	s_andn2_b64 s[46:47], s[46:47], exec
	s_waitcnt lgkmcnt(0)
	v_cmp_ge_u64_e32 vcc, v[0:1], v[42:43]
	s_orn2_b64 vcc, vcc, exec
	s_branch .LBB4_219
.LBB4_224:                              ;   in Loop: Header=BB4_21 Depth=1
	s_or_b64 exec, exec, s[42:43]
	s_and_saveexec_b64 vcc, s[44:45]
	s_xor_b64 vcc, exec, vcc
	s_cbranch_execz .LBB4_226
; %bb.225:                              ;   in Loop: Header=BB4_21 Depth=1
	v_mov_b32_e32 v0, 1
	ds_write_b32 v0, v0
	s_trap 2
.LBB4_226:                              ;   in Loop: Header=BB4_21 Depth=1
	s_or_b64 exec, exec, s[40:41]
	;;#ASMSTART
	s_wakeup
	;;#ASMEND
.LBB4_227:                              ;   in Loop: Header=BB4_21 Depth=1
	s_or_b64 exec, exec, s[38:39]
.LBB4_228:                              ;   in Loop: Header=BB4_21 Depth=1
	s_andn2_saveexec_b64 s[20:21], s[20:21]
	s_cbranch_execz .LBB4_230
; %bb.229:                              ;   in Loop: Header=BB4_21 Depth=1
	s_waitcnt vmcnt(0) lgkmcnt(0)
	buffer_wbinvl1_vol
	s_barrier
.LBB4_230:                              ;   in Loop: Header=BB4_21 Depth=1
	s_or_b64 exec, exec, s[20:21]
.LBB4_231:                              ;   in Loop: Header=BB4_21 Depth=1
	s_or_b64 exec, exec, s[18:19]
	s_and_saveexec_b64 s[18:19], s[14:15]
	s_cbranch_execz .LBB4_20
; %bb.232:                              ;   in Loop: Header=BB4_21 Depth=1
	v_add_co_u32_e32 v38, vcc, 1, v38
	v_accvgpr_read_b32 v0, a16
	v_addc_co_u32_e32 v39, vcc, 0, v39, vcc
	v_accvgpr_read_b32 v1, a17
	flat_store_dwordx2 v[0:1], v[38:39]
	s_branch .LBB4_20
.LBB4_233:
	s_or_b64 exec, exec, s[28:29]
	v_accvgpr_read_b32 v19, a11
	v_accvgpr_read_b32 v27, a13
	v_accvgpr_read_b32 v31, a0
	v_accvgpr_read_b32 v11, a1
	v_accvgpr_read_b32 v18, a10
	v_accvgpr_read_b32 v26, a12
.LBB4_234:
	s_or_b64 exec, exec, s[26:27]
; %bb.235:
	s_and_saveexec_b64 s[6:7], s[24:25]
	s_cbranch_execnz .LBB4_238
; %bb.236:
	s_or_b64 exec, exec, s[6:7]
	s_and_saveexec_b64 s[6:7], s[4:5]
	s_cbranch_execnz .LBB4_239
.LBB4_237:
	s_or_b64 exec, exec, s[6:7]
	v_cmp_ne_u32_e32 vcc, 64, v20
	s_and_saveexec_b64 s[4:5], vcc
	s_cbranch_execnz .LBB4_240
	s_branch .LBB4_257
.LBB4_238:
	s_waitcnt vmcnt(0) lgkmcnt(0)
	flat_store_dwordx2 v[26:27], v[38:39] offset:104
	s_or_b64 exec, exec, s[6:7]
	s_and_saveexec_b64 s[6:7], s[4:5]
	s_cbranch_execz .LBB4_237
.LBB4_239:
	s_waitcnt vmcnt(0) lgkmcnt(0)
	flat_store_dwordx2 v[18:19], v[14:15] offset:104
	s_or_b64 exec, exec, s[6:7]
	v_cmp_ne_u32_e32 vcc, 64, v20
	s_and_saveexec_b64 s[4:5], vcc
	s_cbranch_execz .LBB4_257
.LBB4_240:
	v_cmp_ne_u32_sdwa s[6:7], v11, v20 src0_sel:WORD_0 src1_sel:DWORD
	s_and_saveexec_b64 s[8:9], s[6:7]
	s_xor_b64 s[6:7], exec, s[8:9]
	s_cbranch_execz .LBB4_255
; %bb.241:
	v_and_b32_e32 v0, 63, v31
	v_cmp_eq_u32_e32 vcc, 0, v0
	s_and_saveexec_b64 s[8:9], vcc
	s_cbranch_execz .LBB4_254
; %bb.242:
	s_mov_b64 s[12:13], exec
	v_mbcnt_lo_u32_b32 v0, s12, 0
	v_mbcnt_hi_u32_b32 v0, s13, v0
	v_cmp_eq_u32_e32 vcc, 0, v0
	s_waitcnt vmcnt(0) lgkmcnt(0)
	buffer_wbinvl1_vol
	s_and_saveexec_b64 s[10:11], vcc
	s_cbranch_execz .LBB4_244
; %bb.243:
	s_bcnt1_i32_b64 s12, s[12:13]
	v_mov_b32_e32 v0, s12
	v_mov_b32_e32 v1, 0
	ds_add_u64 v0, v[0:1]
	s_trap 2
.LBB4_244:
	s_or_b64 exec, exec, s[10:11]
	v_ashrrev_i32_e32 v0, 31, v20
	v_lshrrev_b32_e32 v0, 26, v0
	v_add_u32_e32 v0, v20, v0
	v_ashrrev_i32_e32 v0, 6, v0
	s_trap 2
	ds_read_b64 v[2:3], v0
	v_ashrrev_i32_e32 v1, 31, v0
	v_add_co_u32_e32 v0, vcc, v42, v0
	v_addc_co_u32_e32 v1, vcc, v43, v1, vcc
	s_waitcnt lgkmcnt(0)
	v_cmp_lt_u64_e32 vcc, v[2:3], v[0:1]
	s_and_saveexec_b64 s[10:11], vcc
	s_cbranch_execz .LBB4_253
; %bb.245:
	s_mov_b32 s24, 0
	s_mov_b64 s[12:13], 0
                                        ; implicit-def: $sgpr14_sgpr15
                                        ; implicit-def: $sgpr16_sgpr17
	s_branch .LBB4_247
.LBB4_246:                              ;   in Loop: Header=BB4_247 Depth=1
	s_or_b64 exec, exec, s[22:23]
	s_and_b64 s[18:19], exec, s[20:21]
	s_or_b64 s[12:13], s[18:19], s[12:13]
	s_andn2_b64 s[14:15], s[14:15], exec
	s_and_b64 s[18:19], s[16:17], exec
	s_or_b64 s[14:15], s[14:15], s[18:19]
	s_andn2_b64 exec, exec, s[12:13]
	s_cbranch_execz .LBB4_251
.LBB4_247:                              ; =>This Inner Loop Header: Depth=1
	s_add_i32 s24, s24, 1
	s_cmpk_lg_i32 s24, 0x2710
	s_cselect_b64 s[18:19], -1, 0
	s_and_b64 vcc, exec, s[18:19]
                                        ; implicit-def: $sgpr22_sgpr23
	s_cbranch_vccnz .LBB4_249
; %bb.248:                              ;   in Loop: Header=BB4_247 Depth=1
	s_trap 2
	ds_read_b64 v[2:3], v0
	s_andn2_b64 s[18:19], s[18:19], exec
	s_mov_b32 s24, 0
	s_mov_b64 s[22:23], -1
	s_waitcnt lgkmcnt(0)
	flat_load_dword v2, v[2:3] glc
	s_waitcnt vmcnt(0) lgkmcnt(0)
	buffer_invl2
	buffer_wbinvl1_vol
	v_cmp_eq_u32_e32 vcc, 0, v2
	s_and_b64 s[20:21], vcc, exec
	s_or_b64 s[18:19], s[18:19], s[20:21]
.LBB4_249:                              ;   in Loop: Header=BB4_247 Depth=1
	s_andn2_b64 s[16:17], s[16:17], exec
	s_and_b64 s[22:23], s[22:23], exec
	s_mov_b64 s[20:21], -1
	s_or_b64 s[16:17], s[16:17], s[22:23]
	s_and_saveexec_b64 s[22:23], s[18:19]
	s_cbranch_execz .LBB4_246
; %bb.250:                              ;   in Loop: Header=BB4_247 Depth=1
	s_sleep 1
	s_trap 2
	ds_read_b64 v[2:3], v0
	s_andn2_b64 s[16:17], s[16:17], exec
	s_waitcnt lgkmcnt(0)
	v_cmp_ge_u64_e32 vcc, v[2:3], v[0:1]
	s_orn2_b64 s[20:21], vcc, exec
	s_branch .LBB4_246
.LBB4_251:
	s_or_b64 exec, exec, s[12:13]
	s_and_saveexec_b64 s[12:13], s[14:15]
	s_xor_b64 s[12:13], exec, s[12:13]
	s_cbranch_execz .LBB4_253
; %bb.252:
	v_mov_b32_e32 v0, 1
	ds_write_b32 v0, v0
	s_trap 2
.LBB4_253:
	s_or_b64 exec, exec, s[10:11]
	;;#ASMSTART
	s_wakeup
	;;#ASMEND
.LBB4_254:
	s_or_b64 exec, exec, s[8:9]
.LBB4_255:
	s_andn2_saveexec_b64 s[6:7], s[6:7]
	s_cbranch_execz .LBB4_257
; %bb.256:
	s_waitcnt vmcnt(0) lgkmcnt(0)
	buffer_wbinvl1_vol
	s_barrier
.LBB4_257:
	s_or_b64 exec, exec, s[4:5]
	buffer_load_dword a43, off, s[0:3], s32 ; 4-byte Folded Reload
	buffer_load_dword a42, off, s[0:3], s32 offset:4 ; 4-byte Folded Reload
	buffer_load_dword a40, off, s[0:3], s32 offset:8 ; 4-byte Folded Reload
	;; [unrolled: 1-line block ×25, first 2 shown]
	v_readlane_b32 s30, v63, 27
	v_readlane_b32 s31, v63, 28
	;; [unrolled: 1-line block ×29, first 2 shown]
	s_or_saveexec_b64 s[4:5], -1
	buffer_load_dword v63, off, s[0:3], s32 offset:104 ; 4-byte Folded Reload
	s_mov_b64 exec, s[4:5]
	s_waitcnt vmcnt(0) lgkmcnt(0)
	s_setpc_b64 s[30:31]
.Lfunc_end4:
	.size	_ZN12_GLOBAL__N_17runRingI12hip_bfloat168FuncProdIS1_E7ProtoLLLi0ELi4ELi0EEEviiP15ncclDevWorkColl, .Lfunc_end4-_ZN12_GLOBAL__N_17runRingI12hip_bfloat168FuncProdIS1_E7ProtoLLLi0ELi4ELi0EEEviiP15ncclDevWorkColl
                                        ; -- End function
	.section	.AMDGPU.csdata,"",@progbits
; Function info:
; codeLenInByte = 9268
; NumSgprs: 65
; NumVgprs: 64
; NumAgprs: 44
; TotalNumVgprs: 108
; ScratchSize: 112
; MemoryBound: 0
	.text
	.p2align	2                               ; -- Begin function _Z49ncclDevFunc_ReduceScatter_RING_LL_Prod_bf16_0_0_4v
	.type	_Z49ncclDevFunc_ReduceScatter_RING_LL_Prod_bf16_0_0_4v,@function
_Z49ncclDevFunc_ReduceScatter_RING_LL_Prod_bf16_0_0_4v: ; @_Z49ncclDevFunc_ReduceScatter_RING_LL_Prod_bf16_0_0_4v
; %bb.0:
	s_waitcnt vmcnt(0) expcnt(0) lgkmcnt(0)
	s_mov_b32 s4, s33
	s_mov_b32 s33, s32
	s_or_saveexec_b64 s[6:7], -1
	buffer_store_dword v43, off, s[0:3], s33 offset:16 ; 4-byte Folded Spill
	s_mov_b64 exec, s[6:7]
	v_writelane_b32 v43, s4, 37
	s_addk_i32 s32, 0x800
	buffer_store_dword v40, off, s[0:3], s33 offset:12 ; 4-byte Folded Spill
	buffer_store_dword v41, off, s[0:3], s33 offset:8 ; 4-byte Folded Spill
	;; [unrolled: 1-line block ×3, first 2 shown]
	buffer_store_dword v63, off, s[0:3], s33 ; 4-byte Folded Spill
	v_writelane_b32 v43, s34, 0
	v_writelane_b32 v43, s35, 1
	;; [unrolled: 1-line block ×37, first 2 shown]
	s_trap 2
	ds_read_b32 v0, v0
	v_mov_b32_e32 v40, v31
	s_mov_b32 s61, s12
	s_mov_b64 s[62:63], s[8:9]
	s_waitcnt lgkmcnt(0)
	v_cmp_gt_i32_e32 vcc, 1, v0
	s_cbranch_vccnz .LBB5_8
; %bb.1:
	s_mov_b32 s68, 0
	v_and_b32_e32 v41, 0x3ff, v40
	s_mov_b64 s[64:65], src_shared_base
	v_mov_b32_e32 v42, 6
	s_branch .LBB5_3
.LBB5_2:                                ;   in Loop: Header=BB5_3 Depth=1
	s_or_b64 exec, exec, s[66:67]
	s_trap 2
	ds_read_b32 v0, v0
	s_add_i32 s68, s68, 1
	s_waitcnt lgkmcnt(0)
	v_cmp_lt_i32_e32 vcc, s68, v0
	s_cbranch_vccz .LBB5_8
.LBB5_3:                                ; =>This Inner Loop Header: Depth=1
	s_trap 2
	ds_read_b32 v0, v0
	s_cmp_eq_u32 s68, 0
	s_cbranch_scc1 .LBB5_6
; %bb.4:                                ;   in Loop: Header=BB5_3 Depth=1
	s_trap 2
	s_waitcnt lgkmcnt(0)
	ds_read_b32 v1, v0
	s_waitcnt lgkmcnt(0)
	v_xor_b32_e32 v1, v1, v0
	v_and_b32_e32 v1, 0xff0000, v1
	v_cmp_eq_u32_e32 vcc, 0, v1
	s_cbranch_vccnz .LBB5_6
; %bb.5:                                ;   in Loop: Header=BB5_3 Depth=1
	s_barrier
	ds_read_b32 v0, v0
.LBB5_6:                                ;   in Loop: Header=BB5_3 Depth=1
	s_waitcnt lgkmcnt(0)
	v_lshlrev_b32_sdwa v1, v42, v0 dst_sel:DWORD dst_unused:UNUSED_PAD src0_sel:DWORD src1_sel:BYTE_2
	v_cmp_lt_u32_e32 vcc, v41, v1
	s_and_saveexec_b64 s[66:67], vcc
	s_cbranch_execz .LBB5_2
; %bb.7:                                ;   in Loop: Header=BB5_3 Depth=1
	s_mov_b64 s[8:9], s[62:63]
	s_mov_b32 s12, s61
	v_mov_b32_e32 v31, v40
	v_mov_b32_e32 v0, v41
	v_mov_b32_e32 v3, s65
	s_getpc_b64 s[4:5]
	s_add_u32 s4, s4, _ZN12_GLOBAL__N_17runRingI12hip_bfloat168FuncProdIS1_E7ProtoLLLi0ELi4ELi0EEEviiP15ncclDevWorkColl@rel32@lo+4
	s_addc_u32 s5, s5, _ZN12_GLOBAL__N_17runRingI12hip_bfloat168FuncProdIS1_E7ProtoLLLi0ELi4ELi0EEEviiP15ncclDevWorkColl@rel32@hi+12
	s_swappc_b64 s[30:31], s[4:5]
	s_branch .LBB5_2
.LBB5_8:
	buffer_load_dword v63, off, s[0:3], s33 ; 4-byte Folded Reload
	buffer_load_dword v42, off, s[0:3], s33 offset:4 ; 4-byte Folded Reload
	buffer_load_dword v41, off, s[0:3], s33 offset:8 ; 4-byte Folded Reload
	;; [unrolled: 1-line block ×3, first 2 shown]
	v_readlane_b32 s30, v43, 35
	v_readlane_b32 s31, v43, 36
	;; [unrolled: 1-line block ×38, first 2 shown]
	s_or_saveexec_b64 s[6:7], -1
	buffer_load_dword v43, off, s[0:3], s33 offset:16 ; 4-byte Folded Reload
	s_mov_b64 exec, s[6:7]
	s_addk_i32 s32, 0xf800
	s_mov_b32 s33, s4
	s_waitcnt vmcnt(0)
	s_setpc_b64 s[30:31]
.Lfunc_end5:
	.size	_Z49ncclDevFunc_ReduceScatter_RING_LL_Prod_bf16_0_0_4v, .Lfunc_end5-_Z49ncclDevFunc_ReduceScatter_RING_LL_Prod_bf16_0_0_4v
                                        ; -- End function
	.section	.AMDGPU.csdata,"",@progbits
; Function info:
; codeLenInByte = 972
; NumSgprs: 73
; NumVgprs: 64
; NumAgprs: 44
; TotalNumVgprs: 108
; ScratchSize: 144
; MemoryBound: 0
	.text
	.p2alignl 6, 3212836864
	.fill 256, 4, 3212836864
	.type	__hip_cuid_e6237ce1ece32214,@object ; @__hip_cuid_e6237ce1ece32214
	.section	.bss,"aw",@nobits
	.globl	__hip_cuid_e6237ce1ece32214
__hip_cuid_e6237ce1ece32214:
	.byte	0                               ; 0x0
	.size	__hip_cuid_e6237ce1ece32214, 1

	.ident	"AMD clang version 19.0.0git (https://github.com/RadeonOpenCompute/llvm-project roc-6.4.0 25133 c7fe45cf4b819c5991fe208aaa96edf142730f1d)"
	.section	".note.GNU-stack","",@progbits
	.addrsig
	.addrsig_sym _Z49ncclDevFunc_ReduceScatter_RING_LL_Prod_bf16_0_0_1v
	.addrsig_sym _Z49ncclDevFunc_ReduceScatter_RING_LL_Prod_bf16_0_0_2v
	.addrsig_sym _Z49ncclDevFunc_ReduceScatter_RING_LL_Prod_bf16_0_0_4v
	.addrsig_sym ncclShmem
	.addrsig_sym __hip_cuid_e6237ce1ece32214
	.amdgpu_metadata
---
amdhsa.kernels:  []
amdhsa.target:   amdgcn-amd-amdhsa--gfx90a
amdhsa.version:
  - 1
  - 2
...

	.end_amdgpu_metadata
